;; amdgpu-corpus repo=ROCm/aiter kind=harvested arch=n/a opt=n/a

/root/src/amdgpu-assembly/repos/ROCm__aiter/hsa/gfx942/fmoe_2stages/fmoe_stage1_bf16_pertokenInt8_g1u1_32x128_3tg_pf2.co:	file format elf64-amdgpu

Disassembly of section .text:

0000000000002a00 <_ZN5aiter49fmoe_stage1_bf16_pertokenInt8_g1u1_32x128_3tg_pf2E>:
	s_and_b32 s1, s1, 0xffff                                   // 000000002A00: 8601FF01 0000FFFF
	s_load_dwordx2 s[8:9], s[0:1], 0x0                         // 000000002A08: C0060200 00000000
	s_load_dwordx2 s[20:21], s[0:1], 0x10                      // 000000002A10: C0060500 00000010
	s_load_dwordx2 s[24:25], s[0:1], 0x20                      // 000000002A18: C0060600 00000020
	s_load_dwordx2 s[48:49], s[0:1], 0x30                      // 000000002A20: C0060C00 00000030
	s_load_dwordx2 s[28:29], s[0:1], 0x40                      // 000000002A28: C0060700 00000040
	s_load_dwordx2 s[32:33], s[0:1], 0x50                      // 000000002A30: C0060800 00000050
	s_load_dwordx2 s[36:37], s[0:1], 0x60                      // 000000002A38: C0060900 00000060
	s_load_dwordx2 s[12:13], s[0:1], 0x70                      // 000000002A40: C0060300 00000070
	s_load_dwordx2 s[44:45], s[0:1], 0x80                      // 000000002A48: C0060B00 00000080
	s_mov_b32 s89, 0                                           // 000000002A50: BED90080
	s_load_dword s64, s[0:1], 0x90                             // 000000002A54: C0021000 00000090
	s_load_dword s65, s[0:1], 0xa0                             // 000000002A5C: C0021040 000000A0
	s_load_dword s66, s[0:1], 0xb0                             // 000000002A64: C0021080 000000B0
	s_load_dword s67, s[0:1], 0xc0                             // 000000002A6C: C00210C0 000000C0
	s_load_dword s68, s[0:1], 0xd0                             // 000000002A74: C0021100 000000D0
	s_load_dword s69, s[0:1], 0xe0                             // 000000002A7C: C0021140 000000E0
	s_load_dword s71, s[0:1], 0xf0                             // 000000002A84: C00211C0 000000F0
	s_load_dword s72, s[0:1], 0x100                            // 000000002A8C: C0021200 00000100
	s_load_dword s74, s[0:1], 0x110                            // 000000002A94: C0021280 00000110
	s_load_dword s76, s[0:1], 0x120                            // 000000002A9C: C0021300 00000120
	s_load_dword s56, s[0:1], 0x130                            // 000000002AA4: C0020E00 00000130
	s_load_dword s88, s[0:1], 0x140                            // 000000002AAC: C0021600 00000140
	s_load_dword s89, s[0:1], 0x150                            // 000000002AB4: C0021640 00000150
	v_lshrrev_b32_e32 v1, 10, v0                               // 000000002ABC: 2002008A
	v_lshrrev_b32_e32 v2, 10, v1                               // 000000002AC0: 2004028A
	v_and_b32_e32 v2, 0x3ff, v2                                // 000000002AC4: 260404FF 000003FF
	v_and_b32_e32 v1, 0x3ff, v1                                // 000000002ACC: 260202FF 000003FF
	v_and_b32_e32 v0, 0x3ff, v0                                // 000000002AD4: 260000FF 000003FF
	v_lshrrev_b32_e32 v3, 6, v0                                // 000000002ADC: 20060086
	v_and_b32_e32 v0, 63, v0                                   // 000000002AE0: 260000BF
	s_mov_b32 s2, s2                                           // 000000002AE4: BE820002
	s_mov_b32 s3, s3                                           // 000000002AE8: BE830003
	s_mov_b32 s4, s4                                           // 000000002AEC: BE840004
	v_readfirstlane_b32 s7, v3                                 // 000000002AF0: 7E0E0503
	s_waitcnt lgkmcnt(0)                                       // 000000002AF4: BF8CC07F
	s_and_b32 s49, s49, 0xffff                                 // 000000002AF8: 8631FF31 0000FFFF
	s_load_dword s48, s[48:49], 0x0                            // 000000002B00: C0020C18 00000000
	s_and_b32 s45, s45, 0xffff                                 // 000000002B08: 862DFF2D 0000FFFF
	s_and_b32 s9, s9, 0xffff                                   // 000000002B10: 8609FF09 0000FFFF
	s_mul_i32 s60, s66, s68                                    // 000000002B18: 923C4442
	s_mul_i32 s61, s66, 4                                      // 000000002B1C: 923D8442
	s_mov_b32 s22, s60                                         // 000000002B20: BE96003C
	s_mov_b32 s26, -16                                         // 000000002B24: BE9A00D0
	s_mov_b32 s30, s61                                         // 000000002B28: BE9E003D
	s_mov_b32 s14, 0x80                                        // 000000002B2C: BE8E00FF 00000080
	s_mov_b32 s38, -16                                         // 000000002B34: BEA600D0
	s_mov_b32 s10, -16                                         // 000000002B38: BE8A00D0
	s_mov_b32 s34, 0x200                                       // 000000002B3C: BEA200FF 00000200
	s_mov_b32 s23, 0x20000                                     // 000000002B44: BE9700FF 00020000
	s_mov_b32 s27, 0x20000                                     // 000000002B4C: BE9B00FF 00020000
	s_mov_b32 s31, 0x20000                                     // 000000002B54: BE9F00FF 00020000
	s_mov_b32 s35, 0x20000                                     // 000000002B5C: BEA300FF 00020000
	s_mov_b32 s15, 0x20000                                     // 000000002B64: BE8F00FF 00020000
	s_mov_b32 s39, 0x20000                                     // 000000002B6C: BEA700FF 00020000
	s_mov_b32 s11, 0x20000                                     // 000000002B74: BE8B00FF 00020000
	s_and_b32 s21, s21, 0xffff                                 // 000000002B7C: 8615FF15 0000FFFF
	s_and_b32 s25, s25, 0xffff                                 // 000000002B84: 8619FF19 0000FFFF
	s_and_b32 s29, s29, 0xffff                                 // 000000002B8C: 861DFF1D 0000FFFF
	s_and_b32 s33, s33, 0xffff                                 // 000000002B94: 8621FF21 0000FFFF
	s_and_b32 s13, s13, 0xffff                                 // 000000002B9C: 860DFF0D 0000FFFF
	s_and_b32 s37, s37, 0xffff                                 // 000000002BA4: 8625FF25 0000FFFF
	s_or_b32 s21, s21, 0x40000                                 // 000000002BAC: 8715FF15 00040000
	s_or_b32 s25, s25, 0x40000                                 // 000000002BB4: 8719FF19 00040000
	s_or_b32 s29, s29, 0x40000                                 // 000000002BBC: 871DFF1D 00040000
	s_or_b32 s33, s33, 0x40000                                 // 000000002BC4: 8721FF21 00040000
	s_or_b32 s13, s13, 0x40000                                 // 000000002BCC: 870DFF0D 00040000
	s_or_b32 s37, s37, 0x40000                                 // 000000002BD4: 8725FF25 00040000
	v_accvgpr_write_b32 a63, 0                                 // 000000002BDC: D3D9403F 18000080
	v_mov_b32_e32 v75, 0                                       // 000000002BE4: 7E960280
	s_waitcnt lgkmcnt(0)                                       // 000000002BE8: BF8CC07F
	s_mul_i32 s60, s3, 32                                      // 000000002BEC: 923CA003
	s_cmp_lt_i32 s60, s48                                      // 000000002BF0: BF04303C
	s_cbranch_scc0 label_0DFC                                  // 000000002BF4: BF840D7B
	s_mov_b32 s80, 0                                           // 000000002BF8: BED00080
	s_lshr_b32 s81, s64, s88                                   // 000000002BFC: 8F515840
	s_mul_i32 s60, s3, 4                                       // 000000002C00: 923C8403
	s_add_u32 s44, s60, s44                                    // 000000002C04: 802C2C3C
	s_addc_u32 s45, 0, s45                                     // 000000002C08: 822D2D80
	s_load_dword s5, s[44:45], 0x0                             // 000000002C0C: C0020156 00000000
	s_mul_i32 s60, s3, 32                                      // 000000002C14: 923CA003
	s_mul_i32 s60, 4, s60                                      // 000000002C18: 923C3C84
	s_add_u32 s12, s60, s12                                    // 000000002C1C: 800C0C3C
	s_addc_u32 s13, 0, s13                                     // 000000002C20: 820D0D80
	v_and_b32_e32 v4, 15, v0                                   // 000000002C24: 2608008F
	v_lshlrev_b32_e32 v4, 2, v4                                // 000000002C28: 24080882
	buffer_load_dword v28, v4, s[12:15], 0 offen               // 000000002C2C: E0501000 80031C04
	v_add_u32_e32 v4, 64, v4                                   // 000000002C34: 680808C0
	buffer_load_dword v29, v4, s[12:15], 0 offen               // 000000002C38: E0501000 80031D04
	v_add_u32_e32 v4, 64, v4                                   // 000000002C40: 680808C0
	s_mul_i32 s60, 4, s7                                       // 000000002C44: 923C0784
	v_lshlrev_b32_e32 v4, 4, v0                                // 000000002C48: 24080084
	v_add_u32_e32 v4, s60, v4                                  // 000000002C4C: 6808083C
	buffer_load_dword v3, v4, s[12:15], 0 offen                // 000000002C50: E0501000 80030304
	v_mov_b32_e32 v44, 0                                       // 000000002C58: 7E580280
	v_mov_b32_e32 v60, 0                                       // 000000002C5C: 7E780280
	v_mov_b32_e32 v45, 0                                       // 000000002C60: 7E5A0280
	v_mov_b32_e32 v61, 0                                       // 000000002C64: 7E7A0280
	v_mov_b32_e32 v46, 0                                       // 000000002C68: 7E5C0280
	v_mov_b32_e32 v62, 0                                       // 000000002C6C: 7E7C0280
	v_mov_b32_e32 v47, 0                                       // 000000002C70: 7E5E0280
	v_mov_b32_e32 v63, 0                                       // 000000002C74: 7E7E0280
	v_mov_b32_e32 v48, 0                                       // 000000002C78: 7E600280
	v_mov_b32_e32 v64, 0                                       // 000000002C7C: 7E800280
	v_mov_b32_e32 v49, 0                                       // 000000002C80: 7E620280
	v_mov_b32_e32 v65, 0                                       // 000000002C84: 7E820280
	v_mov_b32_e32 v50, 0                                       // 000000002C88: 7E640280
	v_mov_b32_e32 v66, 0                                       // 000000002C8C: 7E840280
	v_mov_b32_e32 v51, 0                                       // 000000002C90: 7E660280
	v_mov_b32_e32 v67, 0                                       // 000000002C94: 7E860280
	v_mov_b32_e32 v52, 0                                       // 000000002C98: 7E680280
	v_mov_b32_e32 v68, 0                                       // 000000002C9C: 7E880280
	v_mov_b32_e32 v53, 0                                       // 000000002CA0: 7E6A0280
	v_mov_b32_e32 v69, 0                                       // 000000002CA4: 7E8A0280
	v_mov_b32_e32 v54, 0                                       // 000000002CA8: 7E6C0280
	v_mov_b32_e32 v70, 0                                       // 000000002CAC: 7E8C0280
	v_mov_b32_e32 v55, 0                                       // 000000002CB0: 7E6E0280
	v_mov_b32_e32 v71, 0                                       // 000000002CB4: 7E8E0280
	v_mov_b32_e32 v56, 0                                       // 000000002CB8: 7E700280
	v_mov_b32_e32 v72, 0                                       // 000000002CBC: 7E900280
	v_mov_b32_e32 v57, 0                                       // 000000002CC0: 7E720280
	v_mov_b32_e32 v73, 0                                       // 000000002CC4: 7E920280
	v_mov_b32_e32 v58, 0                                       // 000000002CC8: 7E740280
	v_mov_b32_e32 v74, 0                                       // 000000002CCC: 7E940280
	v_mov_b32_e32 v59, 0                                       // 000000002CD0: 7E760280
	v_mov_b32_e32 v75, 0                                       // 000000002CD4: 7E960280
	s_mul_i32 s60, s2, 0x100                                   // 000000002CD8: 923CFF02 00000100
	s_cmp_eq_u32 s88, 0                                        // 000000002CE0: BF068058
	s_cselect_b32 s61, 1, 2                                    // 000000002CE4: 853D8281
	s_mul_i32 s60, s60, s61                                    // 000000002CE8: 923C3D3C
	s_mov_b32 s90, s8                                          // 000000002CEC: BEDA0008
	s_mov_b32 s91, s9                                          // 000000002CF0: BEDB0009
	s_add_u32 s8, s60, s8                                      // 000000002CF4: 8008083C
	s_addc_u32 s9, 0, s9                                       // 000000002CF8: 82090980
	v_lshrrev_b32_e32 v4, 4, v0                                // 000000002CFC: 20080084
	v_mul_lo_u32 v20, 34, v4                                   // 000000002D00: D2850014 000208A2
	v_and_b32_e32 v4, 15, v0                                   // 000000002D08: 2608008F
	v_mul_lo_u32 v5, 2, v4                                     // 000000002D0C: D2850005 00020882
	v_add_u32_e32 v20, v5, v20                                 // 000000002D14: 68282905
	s_mul_i32 s60, s7, 0x88                                    // 000000002D18: 923CFF07 00000088
	v_add_u32_e32 v20, s60, v20                                // 000000002D20: 6828283C
	v_lshlrev_b32_e32 v20, 2, v20                              // 000000002D24: 24282882
	v_and_b32_e32 v4, 31, v0                                   // 000000002D28: 2608009F
	v_lshrrev_b32_e32 v4, 1, v4                                // 000000002D2C: 20080881
	v_mul_lo_u32 v21, 34, v4                                   // 000000002D30: D2850015 000208A2
	v_lshrrev_b32_e32 v4, 5, v0                                // 000000002D38: 20080085
	v_mul_lo_u32 v4, 8, v4                                     // 000000002D3C: D2850004 00020888
	v_add_u32_e32 v21, v21, v4                                 // 000000002D44: 682A0915
	v_and_b32_e32 v5, 1, v0                                    // 000000002D48: 260A0081
	v_add_u32_e32 v21, v5, v21                                 // 000000002D4C: 682A2B05
	s_mul_i32 s60, s7, 2                                       // 000000002D50: 923C8207
	v_add_u32_e32 v21, s60, v21                                // 000000002D54: 682A2A3C
	v_lshlrev_b32_e32 v21, 2, v21                              // 000000002D58: 242A2A82
	s_mul_i32 s60, s7, 0x420                                   // 000000002D5C: 923CFF07 00000420
	s_add_u32 s48, 0, s60                                      // 000000002D64: 80303C80
	s_add_u32 s49, 0x1080, s48                                 // 000000002D68: 803130FF 00001080
	v_lshrrev_b32_e32 v4, 4, v0                                // 000000002D70: 20080084
	v_lshlrev_b32_e32 v5, 2, v4                                // 000000002D74: 240A0882
	v_and_b32_e32 v4, 15, v0                                   // 000000002D78: 2608008F
	v_lshrrev_b32_e32 v6, 2, v4                                // 000000002D7C: 200C0882
	v_lshlrev_b32_e32 v6, 5, v6                                // 000000002D80: 240C0C85
	v_add_u32_e32 v5, v6, v5                                   // 000000002D84: 680A0B06
	v_and_b32_e32 v4, 3, v0                                    // 000000002D88: 26080083
	v_mul_u32_u24_e32 v6, 0x108, v4                            // 000000002D8C: 100C08FF 00000108
	v_add_u32_e32 v5, v6, v5                                   // 000000002D94: 680A0B06
	v_lshlrev_b32_e32 v2, 2, v5                                // 000000002D98: 24040A82
	s_waitcnt lgkmcnt(0)                                       // 000000002D9C: BF8CC07F
	s_mul_i32 s60, s2, 0x80                                    // 000000002DA0: 923CFF02 00000080
	s_mul_i32 s60, s60, s69                                    // 000000002DA8: 923C453C
	s_mul_i32 s61, s5, s72                                     // 000000002DAC: 923D4805
	s_add_u32 s60, s61, s60                                    // 000000002DB0: 803C3C3D
	s_add_u32 s24, s60, s24                                    // 000000002DB4: 8018183C
	s_addc_u32 s25, 0, s25                                     // 000000002DB8: 82191980
	s_lshr_b32 s60, s64, s88                                   // 000000002DBC: 8F3C5840
	s_mul_i32 s60, s4, s60                                     // 000000002DC0: 923C3C04
	s_lshr_b32 s60, s60, 7                                     // 000000002DC4: 8F3C873C
	s_mul_i32 s60, s60, 0x800                                  // 000000002DC8: 923CFF3C 00000800
	s_add_u32 s24, s60, s24                                    // 000000002DD0: 8018183C
	s_addc_u32 s25, 0, s25                                     // 000000002DD4: 82191980
	s_lshr_b32 s60, s69, s88                                   // 000000002DD8: 8F3C5845
	s_mul_i32 s60, s4, s60                                     // 000000002DDC: 923C3C04
	s_add_u32 s20, s60, s20                                    // 000000002DE0: 8014143C
	s_addc_u32 s21, 0, s21                                     // 000000002DE4: 82151580
	s_mul_i32 s60, s7, 16                                      // 000000002DE8: 923C9007
	s_mul_i32 s60, s60, s69                                    // 000000002DEC: 923C453C
	v_lshlrev_b32_e32 v40, 4, v0                               // 000000002DF0: 24500084
	v_add_u32_e32 v40, s60, v40                                // 000000002DF4: 6850503C
	s_mul_i32 s60, 64, s69                                     // 000000002DF8: 923C45C0
	v_add_u32_e32 v41, s60, v40                                // 000000002DFC: 6852503C
	s_mov_b32 s84, s24                                         // 000000002E00: BED40018
	s_mov_b32 s85, s25                                         // 000000002E04: BED50019
	s_mov_b32 s86, s26                                         // 000000002E08: BED6001A
	s_mov_b32 s87, s27                                         // 000000002E0C: BED7001B
	s_mul_i32 s60, s69, s65                                    // 000000002E10: 923C4145
	s_add_u32 s84, s60, s84                                    // 000000002E14: 8054543C
	s_addc_u32 s85, 0, s85                                     // 000000002E18: 82555580
	v_lshrrev_b32_e32 v4, 4, v0                                // 000000002E1C: 20080084
	v_lshlrev_b32_e32 v5, 2, v4                                // 000000002E20: 240A0882
	v_and_b32_e32 v4, 15, v0                                   // 000000002E24: 2608008F
	v_lshrrev_b32_e32 v6, 2, v4                                // 000000002E28: 200C0882
	v_lshlrev_b32_e32 v6, 6, v6                                // 000000002E2C: 240C0C86
	v_add_u32_e32 v5, v6, v5                                   // 000000002E30: 680A0B06
	v_and_b32_e32 v4, 3, v0                                    // 000000002E34: 26080083
	v_add_u32_e32 v5, v4, v5                                   // 000000002E38: 680A0B04
	v_lshlrev_b32_e32 v22, 2, v5                               // 000000002E3C: 242C0A82
	s_mul_i32 s60, s7, 16                                      // 000000002E40: 923C9007
	s_mul_i32 s60, s60, 4                                      // 000000002E44: 923C843C
	v_add_u32_e32 v22, s60, v22                                // 000000002E48: 682C2C3C
	s_mul_i32 s60, s2, 0x80                                    // 000000002E4C: 923CFF02 00000080
	s_mul_i32 s60, s60, 4                                      // 000000002E54: 923C843C
	s_mul_i32 s61, s5, s74                                     // 000000002E58: 923D4A05
	s_add_u32 s61, s61, s60                                    // 000000002E5C: 803D3C3D
	s_add_u32 s32, s61, s32                                    // 000000002E60: 8020203D
	s_addc_u32 s33, 0, s33                                     // 000000002E64: 82212180
	s_mov_b32 s57, 0x80                                        // 000000002E68: BEB900FF 00000080
	s_mov_b32 s58, 0x800                                       // 000000002E70: BEBA00FF 00000800
	s_mov_b32 s83, s58                                         // 000000002E78: BED3003A
	s_mov_b32 s52, 0x7060302                                   // 000000002E7C: BEB400FF 07060302
	s_mov_b32 s53, 0x400                                       // 000000002E84: BEB500FF 00000400
	s_mov_b32 s54, 0x40100                                     // 000000002E8C: BEB600FF 00040100
	s_mov_b32 s55, 0x4020100                                   // 000000002E94: BEB700FF 04020100
	s_mov_b32 s6, 0x3fb8aa3b                                   // 000000002E9C: BE8600FF 3FB8AA3B
	s_mov_b32 s78, 0xbd92220c                                  // 000000002EA4: BECE00FF BD92220C
	s_mov_b32 s79, 0xbd92220c                                  // 000000002EAC: BECF00FF BD92220C
	s_mov_b32 m0, s48                                          // 000000002EB4: BEFC0030
	v_mov_b32_e32 v1, 0xbfcc4231                               // 000000002EB8: 7E0202FF BFCC4231
	v_mov_b32_e32 v17, 0xffff0000                              // 000000002EC0: 7E2202FF FFFF0000
	v_mov_b32_e32 v18, 0x7fff0000                              // 000000002EC8: 7E2402FF 7FFF0000
	v_mov_b32_e32 v19, 0x7fff                                  // 000000002ED0: 7E2602FF 00007FFF
	s_waitcnt vmcnt(0) expcnt(0) lgkmcnt(0)                    // 000000002ED8: BF8C0000
	v_lshrrev_b32_e32 v4, 5, v0                                // 000000002EDC: 20080085
	v_xor_b32_e32 v5, 1, v4                                    // 000000002EE0: 2A0A0881
	v_readlane_b32 s82, v3, 0                                  // 000000002EE4: D2890052 00010103
	s_and_b32 s82, s82, 0xffffff                               // 000000002EEC: 8652FF52 00FFFFFF
	v_mul_lo_u32 v6, v5, s82                                   // 000000002EF4: D2850006 0000A505
	v_readlane_b32 s82, v3, 1                                  // 000000002EFC: D2890052 00010303
	s_and_b32 s82, s82, 0xffffff                               // 000000002F04: 8652FF52 00FFFFFF
	v_mul_lo_u32 v7, v4, s82                                   // 000000002F0C: D2850007 0000A504
	v_add_u32_e32 v36, v6, v7                                  // 000000002F14: 68480F06
	v_mul_lo_u32 v36, v36, s68                                 // 000000002F18: D2850024 00008924
	v_readlane_b32 s82, v3, 2                                  // 000000002F20: D2890052 00010503
	s_and_b32 s82, s82, 0xffffff                               // 000000002F28: 8652FF52 00FFFFFF
	v_mul_lo_u32 v6, v5, s82                                   // 000000002F30: D2850006 0000A505
	v_readlane_b32 s82, v3, 3                                  // 000000002F38: D2890052 00010703
	s_and_b32 s82, s82, 0xffffff                               // 000000002F40: 8652FF52 00FFFFFF
	v_mul_lo_u32 v7, v4, s82                                   // 000000002F48: D2850007 0000A504
	v_add_u32_e32 v37, v6, v7                                  // 000000002F50: 684A0F06
	v_mul_lo_u32 v37, v37, s68                                 // 000000002F54: D2850025 00008925
	v_readlane_b32 s82, v3, 4                                  // 000000002F5C: D2890052 00010903
	s_and_b32 s82, s82, 0xffffff                               // 000000002F64: 8652FF52 00FFFFFF
	v_mul_lo_u32 v6, v5, s82                                   // 000000002F6C: D2850006 0000A505
	v_readlane_b32 s82, v3, 5                                  // 000000002F74: D2890052 00010B03
	s_and_b32 s82, s82, 0xffffff                               // 000000002F7C: 8652FF52 00FFFFFF
	v_mul_lo_u32 v7, v4, s82                                   // 000000002F84: D2850007 0000A504
	v_add_u32_e32 v38, v6, v7                                  // 000000002F8C: 684C0F06
	v_mul_lo_u32 v38, v38, s68                                 // 000000002F90: D2850026 00008926
	v_readlane_b32 s82, v3, 6                                  // 000000002F98: D2890052 00010D03
	s_and_b32 s82, s82, 0xffffff                               // 000000002FA0: 8652FF52 00FFFFFF
	v_mul_lo_u32 v6, v5, s82                                   // 000000002FA8: D2850006 0000A505
	v_readlane_b32 s82, v3, 7                                  // 000000002FB0: D2890052 00010F03
	s_and_b32 s82, s82, 0xffffff                               // 000000002FB8: 8652FF52 00FFFFFF
	v_mul_lo_u32 v7, v4, s82                                   // 000000002FC0: D2850007 0000A504
	v_add_u32_e32 v39, v6, v7                                  // 000000002FC8: 684E0F06
	v_mul_lo_u32 v39, v39, s68                                 // 000000002FCC: D2850027 00008927
	v_and_b32_e32 v4, 31, v0                                   // 000000002FD4: 2608009F
	v_lshlrev_b32_e32 v4, 2, v4                                // 000000002FD8: 24080882
	v_add_u32_e32 v36, v36, v4                                 // 000000002FDC: 68480924
	v_add_u32_e32 v37, v37, v4                                 // 000000002FE0: 684A0925
	v_add_u32_e32 v38, v38, v4                                 // 000000002FE4: 684C0926
	v_add_u32_e32 v39, v39, v4                                 // 000000002FE8: 684E0927
	v_and_b32_e32 v28, 0xffffff, v28                           // 000000002FEC: 263838FF 00FFFFFF
	v_lshlrev_b32_e32 v28, 2, v28                              // 000000002FF4: 24383882
	v_and_b32_e32 v29, 0xffffff, v29                           // 000000002FF8: 263A3AFF 00FFFFFF
	v_lshlrev_b32_e32 v29, 2, v29                              // 000000003000: 243A3A82
	s_lshl_b32 s3, s66, 2                                      // 000000003004: 8E038242
	buffer_load_dword v30, v28, s[28:31], 0 offen              // 000000003008: E0501000 80071E1C
	buffer_load_dword v31, v29, s[28:31], 0 offen              // 000000003010: E0501000 80071F1D
	buffer_load_dword v24, v22, s[32:35], 0 offen              // 000000003018: E0501000 80081816
	s_mul_i32 s60, 4, s65                                      // 000000003020: 923C4184
	s_add_u32 s32, s60, s32                                    // 000000003024: 8020203C
	s_addc_u32 s33, 0, s33                                     // 000000003028: 82212180
	buffer_load_dword v26, v22, s[32:35], 0 offen              // 00000000302C: E0501000 80081A16
	buffer_load_dword v36, s[20:23], 0 offen lds               // 000000003034: E0511000 80050024
	s_add_u32 m0, 0x100, s48                                   // 00000000303C: 807C30FF 00000100
	buffer_load_dword v37, s[20:23], 0 offen lds               // 000000003044: E0511000 80050025
	s_add_u32 m0, 0x200, s48                                   // 00000000304C: 807C30FF 00000200
	buffer_load_dword v38, s[20:23], 0 offen lds               // 000000003054: E0511000 80050026
	s_add_u32 m0, 0x300, s48                                   // 00000000305C: 807C30FF 00000300
	buffer_load_dword v39, s[20:23], 0 offen lds               // 000000003064: E0511000 80050027
	s_add_u32 m0, 0, s49                                       // 00000000306C: 807C3180
	s_add_u32 s20, s57, s20                                    // 000000003070: 80141439
	s_addc_u32 s21, 0, s21                                     // 000000003074: 82151580
	buffer_load_dword v36, s[20:23], 0 offen lds               // 000000003078: E0511000 80050024
	s_add_u32 m0, 0x100, s49                                   // 000000003080: 807C31FF 00000100
	buffer_load_dword v37, s[20:23], 0 offen lds               // 000000003088: E0511000 80050025
	s_add_u32 m0, 0x200, s49                                   // 000000003090: 807C31FF 00000200
	buffer_load_dword v38, s[20:23], 0 offen lds               // 000000003098: E0511000 80050026
	s_add_u32 m0, 0x300, s49                                   // 0000000030A0: 807C31FF 00000300
	buffer_load_dword v39, s[20:23], 0 offen lds               // 0000000030A8: E0511000 80050027
	s_add_u32 m0, 0, s48                                       // 0000000030B0: 807C3080
	s_add_u32 s20, s57, s20                                    // 0000000030B4: 80141439
	s_addc_u32 s21, 0, s21                                     // 0000000030B8: 82151580
	buffer_load_dwordx4 a[32:35], v40, s[24:27], 0 offen       // 0000000030BC: E05C1000 80862028
	buffer_load_dwordx4 a[36:39], v40, s[24:27], 0 offen offset:1024// 0000000030C4: E05C1400 80862428
	buffer_load_dwordx4 a[40:43], v41, s[24:27], 0 offen       // 0000000030CC: E05C1000 80862829
	buffer_load_dwordx4 a[44:47], v41, s[24:27], 0 offen offset:1024// 0000000030D4: E05C1400 80862C29
	s_add_u32 s24, s58, s24                                    // 0000000030DC: 8018183A
	s_addc_u32 s25, 0, s25                                     // 0000000030E0: 82191980
	s_waitcnt vmcnt(8)                                         // 0000000030E4: BF8C0F78
	s_barrier                                                  // 0000000030E8: BF8A0000
	ds_read_b128 a[0:3], v2                                    // 0000000030EC: DBFE0000 00000002
	ds_read_b128 a[4:7], v2 offset:64                          // 0000000030F4: DBFE0040 04000002
	ds_read_b128 a[8:11], v2 offset:512                        // 0000000030FC: DBFE0200 08000002
	ds_read_b128 a[12:15], v2 offset:576                       // 000000003104: DBFE0240 0C000002
	s_cmp_lt_i32 s7, 2                                         // 00000000310C: BF048207
	s_cbranch_scc0 label_07E2                                  // 000000003110: BF84061A

0000000000003114 <label_01C5>:
	s_waitcnt vmcnt(2) lgkmcnt(0)                              // 000000003114: BF8C0072
	s_barrier                                                  // 000000003118: BF8A0000
	v_mfma_i32_16x16x32_i8 v[44:47], a[32:33], a[0:1], v[44:47]// 00000000311C: D3D7002C 1CB20120
	v_mfma_i32_16x16x32_i8 v[44:47], a[34:35], a[2:3], v[44:47]// 000000003124: D3D7002C 1CB20522
	buffer_load_dwordx4 a[48:51], v40, s[84:87], 0 offen       // 00000000312C: E05C1000 80953028
	v_mfma_i32_16x16x32_i8 v[44:47], a[36:37], a[4:5], v[44:47]// 000000003134: D3D7002C 1CB20924
	v_mfma_i32_16x16x32_i8 v[44:47], a[38:39], a[6:7], v[44:47]// 00000000313C: D3D7002C 1CB20D26
	v_mfma_i32_16x16x32_i8 v[48:51], a[32:33], a[8:9], v[48:51]// 000000003144: D3D70030 1CC21120
	v_mfma_i32_16x16x32_i8 v[48:51], a[34:35], a[10:11], v[48:51]// 00000000314C: D3D70030 1CC21522
	buffer_load_dwordx4 a[52:55], v40, s[84:87], 0 offen offset:1024// 000000003154: E05C1400 80953428
	v_mfma_i32_16x16x32_i8 v[48:51], a[36:37], a[12:13], v[48:51]// 00000000315C: D3D70030 1CC21924
	v_mfma_i32_16x16x32_i8 v[48:51], a[38:39], a[14:15], v[48:51]// 000000003164: D3D70030 1CC21D26
	s_waitcnt vmcnt(2)                                         // 00000000316C: BF8C0F72
	v_mfma_i32_16x16x32_i8 v[52:55], a[40:41], a[0:1], v[52:55]// 000000003170: D3D70034 1CD20128
	v_mfma_i32_16x16x32_i8 v[52:55], a[42:43], a[2:3], v[52:55]// 000000003178: D3D70034 1CD2052A
	buffer_load_dwordx4 a[56:59], v41, s[84:87], 0 offen       // 000000003180: E05C1000 80953829
	v_mfma_i32_16x16x32_i8 v[52:55], a[44:45], a[4:5], v[52:55]// 000000003188: D3D70034 1CD2092C
	v_mfma_i32_16x16x32_i8 v[52:55], a[46:47], a[6:7], v[52:55]// 000000003190: D3D70034 1CD20D2E
	v_mfma_i32_16x16x32_i8 v[56:59], a[40:41], a[8:9], v[56:59]// 000000003198: D3D70038 1CE21128
	v_mfma_i32_16x16x32_i8 v[56:59], a[42:43], a[10:11], v[56:59]// 0000000031A0: D3D70038 1CE2152A
	buffer_load_dwordx4 a[60:63], v41, s[84:87], 0 offen offset:1024// 0000000031A8: E05C1400 80953C29
	buffer_load_dword v36, s[20:23], 0 offen lds               // 0000000031B0: E0511000 80050024
	s_add_u32 m0, 0x100, s48                                   // 0000000031B8: 807C30FF 00000100
	s_add_u32 s60, 0x80, s80                                   // 0000000031C0: 803C50FF 00000080
	s_cmp_lt_u32 s60, s81                                      // 0000000031C8: BF0A513C
	s_cselect_b32 s83, s83, 0                                  // 0000000031CC: 85538053
	v_mfma_i32_16x16x32_i8 v[56:59], a[44:45], a[12:13], v[56:59]// 0000000031D0: D3D70038 1CE2192C
	v_mfma_i32_16x16x32_i8 v[56:59], a[46:47], a[14:15], v[56:59]// 0000000031D8: D3D70038 1CE21D2E
	buffer_load_dword v37, s[20:23], 0 offen lds               // 0000000031E0: E0511000 80050025
	s_add_u32 m0, 0x200, s48                                   // 0000000031E8: 807C30FF 00000200
	buffer_load_dword v38, s[20:23], 0 offen lds               // 0000000031F0: E0511000 80050026
	s_add_u32 m0, 0x300, s48                                   // 0000000031F8: 807C30FF 00000300
	buffer_load_dword v39, s[20:23], 0 offen lds               // 000000003200: E0511000 80050027
	s_add_u32 m0, 0, s49                                       // 000000003208: 807C3180
	s_waitcnt vmcnt(4)                                         // 00000000320C: BF8C0F74
	v_mfma_i32_16x16x32_i8 v[60:63], a[48:49], a[0:1], v[60:63]// 000000003210: D3D7003C 1CF20130
	v_mfma_i32_16x16x32_i8 v[60:63], a[50:51], a[2:3], v[60:63]// 000000003218: D3D7003C 1CF20532
	buffer_load_dwordx4 a[32:35], v40, s[24:27], 0 offen       // 000000003220: E05C1000 80862028
	v_mfma_i32_16x16x32_i8 v[60:63], a[52:53], a[4:5], v[60:63]// 000000003228: D3D7003C 1CF20934
	v_mfma_i32_16x16x32_i8 v[60:63], a[54:55], a[6:7], v[60:63]// 000000003230: D3D7003C 1CF20D36
	ds_read_b128 a[16:19], v2 offset:4224                      // 000000003238: DBFE1080 10000002
	ds_read_b128 a[20:23], v2 offset:4288                      // 000000003240: DBFE10C0 14000002
	v_mfma_i32_16x16x32_i8 v[68:71], a[56:57], a[0:1], v[68:71]// 000000003248: D3D70044 1D120138
	v_mfma_i32_16x16x32_i8 v[68:71], a[58:59], a[2:3], v[68:71]// 000000003250: D3D70044 1D12053A
	buffer_load_dwordx4 a[36:39], v40, s[24:27], 0 offen offset:1024// 000000003258: E05C1400 80862428
	v_mfma_i32_16x16x32_i8 v[68:71], a[60:61], a[4:5], v[68:71]// 000000003260: D3D70044 1D12093C
	v_mfma_i32_16x16x32_i8 v[68:71], a[62:63], a[6:7], v[68:71]// 000000003268: D3D70044 1D120D3E
	ds_read_b128 a[24:27], v2 offset:4736                      // 000000003270: DBFE1280 18000002
	ds_read_b128 a[28:31], v2 offset:4800                      // 000000003278: DBFE12C0 1C000002
	v_mfma_i32_16x16x32_i8 v[64:67], a[48:49], a[8:9], v[64:67]// 000000003280: D3D70040 1D021130
	v_mfma_i32_16x16x32_i8 v[64:67], a[50:51], a[10:11], v[64:67]// 000000003288: D3D70040 1D021532
	buffer_load_dwordx4 a[40:43], v41, s[24:27], 0 offen       // 000000003290: E05C1000 80862829
	v_mfma_i32_16x16x32_i8 v[64:67], a[52:53], a[12:13], v[64:67]// 000000003298: D3D70040 1D021934
	s_add_u32 s60, 0x180, s80                                  // 0000000032A0: 803C50FF 00000180
	s_cmp_lt_u32 s60, s81                                      // 0000000032A8: BF0A513C
	s_cselect_b32 s57, s57, 0                                  // 0000000032AC: 85398039
	v_mfma_i32_16x16x32_i8 v[64:67], a[54:55], a[14:15], v[64:67]// 0000000032B0: D3D70040 1D021D36
	s_add_u32 s60, 0x100, s80                                  // 0000000032B8: 803C50FF 00000100
	s_cmp_lt_u32 s60, s81                                      // 0000000032C0: BF0A513C
	s_cselect_b32 s58, s58, 0                                  // 0000000032C4: 853A803A
	v_mfma_i32_16x16x32_i8 v[72:75], a[56:57], a[8:9], v[72:75]// 0000000032C8: D3D70048 1D221138
	v_mfma_i32_16x16x32_i8 v[72:75], a[58:59], a[10:11], v[72:75]// 0000000032D0: D3D70048 1D22153A
	buffer_load_dwordx4 a[44:47], v41, s[24:27], 0 offen offset:1024// 0000000032D8: E05C1400 80862C29
	s_add_u32 s20, s57, s20                                    // 0000000032E0: 80141439
	s_addc_u32 s21, 0, s21                                     // 0000000032E4: 82151580
	v_mfma_i32_16x16x32_i8 v[72:75], a[60:61], a[12:13], v[72:75]// 0000000032E8: D3D70048 1D22193C
	s_add_u32 s84, s83, s84                                    // 0000000032F0: 80545453
	s_addc_u32 s85, 0, s85                                     // 0000000032F4: 82555580
	v_mfma_i32_16x16x32_i8 v[72:75], a[62:63], a[14:15], v[72:75]// 0000000032F8: D3D70048 1D221D3E
	s_add_u32 s24, s58, s24                                    // 000000003300: 8018183A
	s_addc_u32 s25, 0, s25                                     // 000000003304: 82191980
	s_addk_i32 s80, 0x80                                       // 000000003308: B7500080
	s_cmp_lt_i32 s80, s81                                      // 00000000330C: BF045150
	s_cbranch_scc0 label_02C6                                  // 000000003310: BF840081
	s_waitcnt vmcnt(2) lgkmcnt(0)                              // 000000003314: BF8C0072
	s_barrier                                                  // 000000003318: BF8A0000
	v_mfma_i32_16x16x32_i8 v[44:47], a[32:33], a[16:17], v[44:47]// 00000000331C: D3D7002C 1CB22120
	v_mfma_i32_16x16x32_i8 v[44:47], a[34:35], a[18:19], v[44:47]// 000000003324: D3D7002C 1CB22522
	buffer_load_dwordx4 a[48:51], v40, s[84:87], 0 offen       // 00000000332C: E05C1000 80953028
	v_mfma_i32_16x16x32_i8 v[44:47], a[36:37], a[20:21], v[44:47]// 000000003334: D3D7002C 1CB22924
	v_mfma_i32_16x16x32_i8 v[44:47], a[38:39], a[22:23], v[44:47]// 00000000333C: D3D7002C 1CB22D26
	v_mfma_i32_16x16x32_i8 v[48:51], a[32:33], a[24:25], v[48:51]// 000000003344: D3D70030 1CC23120
	v_mfma_i32_16x16x32_i8 v[48:51], a[34:35], a[26:27], v[48:51]// 00000000334C: D3D70030 1CC23522
	buffer_load_dwordx4 a[52:55], v40, s[84:87], 0 offen offset:1024// 000000003354: E05C1400 80953428
	v_mfma_i32_16x16x32_i8 v[48:51], a[36:37], a[28:29], v[48:51]// 00000000335C: D3D70030 1CC23924
	v_mfma_i32_16x16x32_i8 v[48:51], a[38:39], a[30:31], v[48:51]// 000000003364: D3D70030 1CC23D26
	s_waitcnt vmcnt(2)                                         // 00000000336C: BF8C0F72
	v_mfma_i32_16x16x32_i8 v[52:55], a[40:41], a[16:17], v[52:55]// 000000003370: D3D70034 1CD22128
	v_mfma_i32_16x16x32_i8 v[52:55], a[42:43], a[18:19], v[52:55]// 000000003378: D3D70034 1CD2252A
	buffer_load_dwordx4 a[56:59], v41, s[84:87], 0 offen       // 000000003380: E05C1000 80953829
	v_mfma_i32_16x16x32_i8 v[52:55], a[44:45], a[20:21], v[52:55]// 000000003388: D3D70034 1CD2292C
	v_mfma_i32_16x16x32_i8 v[52:55], a[46:47], a[22:23], v[52:55]// 000000003390: D3D70034 1CD22D2E
	v_mfma_i32_16x16x32_i8 v[56:59], a[40:41], a[24:25], v[56:59]// 000000003398: D3D70038 1CE23128
	v_mfma_i32_16x16x32_i8 v[56:59], a[42:43], a[26:27], v[56:59]// 0000000033A0: D3D70038 1CE2352A
	buffer_load_dwordx4 a[60:63], v41, s[84:87], 0 offen offset:1024// 0000000033A8: E05C1400 80953C29
	buffer_load_dword v36, s[20:23], 0 offen lds               // 0000000033B0: E0511000 80050024
	s_add_u32 m0, 0x100, s49                                   // 0000000033B8: 807C31FF 00000100
	s_add_u32 s60, 0x80, s80                                   // 0000000033C0: 803C50FF 00000080
	s_cmp_lt_u32 s60, s81                                      // 0000000033C8: BF0A513C
	s_cselect_b32 s83, s83, 0                                  // 0000000033CC: 85538053
	v_mfma_i32_16x16x32_i8 v[56:59], a[44:45], a[28:29], v[56:59]// 0000000033D0: D3D70038 1CE2392C
	v_mfma_i32_16x16x32_i8 v[56:59], a[46:47], a[30:31], v[56:59]// 0000000033D8: D3D70038 1CE23D2E
	buffer_load_dword v37, s[20:23], 0 offen lds               // 0000000033E0: E0511000 80050025
	s_add_u32 m0, 0x200, s49                                   // 0000000033E8: 807C31FF 00000200
	buffer_load_dword v38, s[20:23], 0 offen lds               // 0000000033F0: E0511000 80050026
	s_add_u32 m0, 0x300, s49                                   // 0000000033F8: 807C31FF 00000300
	buffer_load_dword v39, s[20:23], 0 offen lds               // 000000003400: E0511000 80050027
	s_add_u32 m0, 0, s48                                       // 000000003408: 807C3080
	s_waitcnt vmcnt(4)                                         // 00000000340C: BF8C0F74
	v_mfma_i32_16x16x32_i8 v[60:63], a[48:49], a[16:17], v[60:63]// 000000003410: D3D7003C 1CF22130
	v_mfma_i32_16x16x32_i8 v[60:63], a[50:51], a[18:19], v[60:63]// 000000003418: D3D7003C 1CF22532
	buffer_load_dwordx4 a[32:35], v40, s[24:27], 0 offen       // 000000003420: E05C1000 80862028
	v_mfma_i32_16x16x32_i8 v[60:63], a[52:53], a[20:21], v[60:63]// 000000003428: D3D7003C 1CF22934
	v_mfma_i32_16x16x32_i8 v[60:63], a[54:55], a[22:23], v[60:63]// 000000003430: D3D7003C 1CF22D36
	ds_read_b128 a[0:3], v2                                    // 000000003438: DBFE0000 00000002
	ds_read_b128 a[4:7], v2 offset:64                          // 000000003440: DBFE0040 04000002
	v_mfma_i32_16x16x32_i8 v[68:71], a[56:57], a[16:17], v[68:71]// 000000003448: D3D70044 1D122138
	v_mfma_i32_16x16x32_i8 v[68:71], a[58:59], a[18:19], v[68:71]// 000000003450: D3D70044 1D12253A
	buffer_load_dwordx4 a[36:39], v40, s[24:27], 0 offen offset:1024// 000000003458: E05C1400 80862428
	v_mfma_i32_16x16x32_i8 v[68:71], a[60:61], a[20:21], v[68:71]// 000000003460: D3D70044 1D12293C
	v_mfma_i32_16x16x32_i8 v[68:71], a[62:63], a[22:23], v[68:71]// 000000003468: D3D70044 1D122D3E
	ds_read_b128 a[8:11], v2 offset:512                        // 000000003470: DBFE0200 08000002
	ds_read_b128 a[12:15], v2 offset:576                       // 000000003478: DBFE0240 0C000002
	v_mfma_i32_16x16x32_i8 v[64:67], a[48:49], a[24:25], v[64:67]// 000000003480: D3D70040 1D023130
	v_mfma_i32_16x16x32_i8 v[64:67], a[50:51], a[26:27], v[64:67]// 000000003488: D3D70040 1D023532
	buffer_load_dwordx4 a[40:43], v41, s[24:27], 0 offen       // 000000003490: E05C1000 80862829
	v_mfma_i32_16x16x32_i8 v[64:67], a[52:53], a[28:29], v[64:67]// 000000003498: D3D70040 1D023934
	s_add_u32 s60, 0x180, s80                                  // 0000000034A0: 803C50FF 00000180
	s_cmp_lt_u32 s60, s81                                      // 0000000034A8: BF0A513C
	s_cselect_b32 s57, s57, 0                                  // 0000000034AC: 85398039
	v_mfma_i32_16x16x32_i8 v[64:67], a[54:55], a[30:31], v[64:67]// 0000000034B0: D3D70040 1D023D36
	s_add_u32 s60, 0x100, s80                                  // 0000000034B8: 803C50FF 00000100
	s_cmp_lt_u32 s60, s81                                      // 0000000034C0: BF0A513C
	s_cselect_b32 s58, s58, 0                                  // 0000000034C4: 853A803A
	v_mfma_i32_16x16x32_i8 v[72:75], a[56:57], a[24:25], v[72:75]// 0000000034C8: D3D70048 1D223138
	v_mfma_i32_16x16x32_i8 v[72:75], a[58:59], a[26:27], v[72:75]// 0000000034D0: D3D70048 1D22353A
	buffer_load_dwordx4 a[44:47], v41, s[24:27], 0 offen offset:1024// 0000000034D8: E05C1400 80862C29
	s_add_u32 s20, s57, s20                                    // 0000000034E0: 80141439
	s_addc_u32 s21, 0, s21                                     // 0000000034E4: 82151580
	v_mfma_i32_16x16x32_i8 v[72:75], a[60:61], a[28:29], v[72:75]// 0000000034E8: D3D70048 1D22393C
	s_add_u32 s84, s83, s84                                    // 0000000034F0: 80545453
	s_addc_u32 s85, 0, s85                                     // 0000000034F4: 82555580
	v_mfma_i32_16x16x32_i8 v[72:75], a[62:63], a[30:31], v[72:75]// 0000000034F8: D3D70048 1D223D3E
	s_add_u32 s24, s58, s24                                    // 000000003500: 8018183A
	s_addc_u32 s25, 0, s25                                     // 000000003504: 82191980
	s_addk_i32 s80, 0x80                                       // 000000003508: B7500080
	s_cmp_lt_i32 s80, s81                                      // 00000000350C: BF045150
	s_cbranch_scc0 label_02C6                                  // 000000003510: BF840001
	s_branch label_01C5                                        // 000000003514: BF82FEFF

0000000000003518 <label_02C6>:
	v_cvt_f32_i32_e32 v44, v44                                 // 000000003518: 7E580B2C
	v_cvt_f32_i32_e32 v45, v45                                 // 00000000351C: 7E5A0B2D
	v_cvt_f32_i32_e32 v46, v46                                 // 000000003520: 7E5C0B2E
	v_cvt_f32_i32_e32 v47, v47                                 // 000000003524: 7E5E0B2F
	v_mul_f32_dpp v44, v24, v44 row_newbcast:0 row_mask:0xf bank_mask:0xf// 000000003528: 0A5858FA FF015018
	v_mul_f32_dpp v45, v24, v45 row_newbcast:1 row_mask:0xf bank_mask:0xf// 000000003530: 0A5A5AFA FF015118
	v_mul_f32_dpp v46, v24, v46 row_newbcast:2 row_mask:0xf bank_mask:0xf// 000000003538: 0A5C5CFA FF015218
	v_mul_f32_dpp v47, v24, v47 row_newbcast:3 row_mask:0xf bank_mask:0xf// 000000003540: 0A5E5EFA FF015318
	v_cvt_f32_i32_e32 v48, v48                                 // 000000003548: 7E600B30
	v_cvt_f32_i32_e32 v49, v49                                 // 00000000354C: 7E620B31
	v_cvt_f32_i32_e32 v50, v50                                 // 000000003550: 7E640B32
	v_cvt_f32_i32_e32 v51, v51                                 // 000000003554: 7E660B33
	v_mul_f32_dpp v48, v24, v48 row_newbcast:0 row_mask:0xf bank_mask:0xf// 000000003558: 0A6060FA FF015018
	v_mul_f32_dpp v49, v24, v49 row_newbcast:1 row_mask:0xf bank_mask:0xf// 000000003560: 0A6262FA FF015118
	v_mul_f32_dpp v50, v24, v50 row_newbcast:2 row_mask:0xf bank_mask:0xf// 000000003568: 0A6464FA FF015218
	v_mul_f32_dpp v51, v24, v51 row_newbcast:3 row_mask:0xf bank_mask:0xf// 000000003570: 0A6666FA FF015318
	v_cvt_f32_i32_e32 v52, v52                                 // 000000003578: 7E680B34
	v_cvt_f32_i32_e32 v53, v53                                 // 00000000357C: 7E6A0B35
	v_cvt_f32_i32_e32 v54, v54                                 // 000000003580: 7E6C0B36
	v_cvt_f32_i32_e32 v55, v55                                 // 000000003584: 7E6E0B37
	v_mul_f32_dpp v52, v24, v52 row_newbcast:4 row_mask:0xf bank_mask:0xf// 000000003588: 0A6868FA FF015418
	v_mul_f32_dpp v53, v24, v53 row_newbcast:5 row_mask:0xf bank_mask:0xf// 000000003590: 0A6A6AFA FF015518
	v_mul_f32_dpp v54, v24, v54 row_newbcast:6 row_mask:0xf bank_mask:0xf// 000000003598: 0A6C6CFA FF015618
	v_mul_f32_dpp v55, v24, v55 row_newbcast:7 row_mask:0xf bank_mask:0xf// 0000000035A0: 0A6E6EFA FF015718
	v_cvt_f32_i32_e32 v56, v56                                 // 0000000035A8: 7E700B38
	v_cvt_f32_i32_e32 v57, v57                                 // 0000000035AC: 7E720B39
	v_cvt_f32_i32_e32 v58, v58                                 // 0000000035B0: 7E740B3A
	v_cvt_f32_i32_e32 v59, v59                                 // 0000000035B4: 7E760B3B
	v_mul_f32_dpp v56, v24, v56 row_newbcast:4 row_mask:0xf bank_mask:0xf// 0000000035B8: 0A7070FA FF015418
	v_mul_f32_dpp v57, v24, v57 row_newbcast:5 row_mask:0xf bank_mask:0xf// 0000000035C0: 0A7272FA FF015518
	v_mul_f32_dpp v58, v24, v58 row_newbcast:6 row_mask:0xf bank_mask:0xf// 0000000035C8: 0A7474FA FF015618
	v_mul_f32_dpp v59, v24, v59 row_newbcast:7 row_mask:0xf bank_mask:0xf// 0000000035D0: 0A7676FA FF015718
	v_cvt_f32_i32_e32 v60, v60                                 // 0000000035D8: 7E780B3C
	v_cvt_f32_i32_e32 v61, v61                                 // 0000000035DC: 7E7A0B3D
	v_cvt_f32_i32_e32 v62, v62                                 // 0000000035E0: 7E7C0B3E
	v_cvt_f32_i32_e32 v63, v63                                 // 0000000035E4: 7E7E0B3F
	v_mul_f32_dpp v60, v26, v60 row_newbcast:0 row_mask:0xf bank_mask:0xf// 0000000035E8: 0A7878FA FF01501A
	v_mul_f32_dpp v61, v26, v61 row_newbcast:1 row_mask:0xf bank_mask:0xf// 0000000035F0: 0A7A7AFA FF01511A
	v_mul_f32_dpp v62, v26, v62 row_newbcast:2 row_mask:0xf bank_mask:0xf// 0000000035F8: 0A7C7CFA FF01521A
	v_mul_f32_dpp v63, v26, v63 row_newbcast:3 row_mask:0xf bank_mask:0xf// 000000003600: 0A7E7EFA FF01531A
	v_cvt_f32_i32_e32 v64, v64                                 // 000000003608: 7E800B40
	v_cvt_f32_i32_e32 v65, v65                                 // 00000000360C: 7E820B41
	v_cvt_f32_i32_e32 v66, v66                                 // 000000003610: 7E840B42
	v_cvt_f32_i32_e32 v67, v67                                 // 000000003614: 7E860B43
	v_mul_f32_dpp v64, v26, v64 row_newbcast:0 row_mask:0xf bank_mask:0xf// 000000003618: 0A8080FA FF01501A
	v_mul_f32_dpp v65, v26, v65 row_newbcast:1 row_mask:0xf bank_mask:0xf// 000000003620: 0A8282FA FF01511A
	v_mul_f32_dpp v66, v26, v66 row_newbcast:2 row_mask:0xf bank_mask:0xf// 000000003628: 0A8484FA FF01521A
	v_mul_f32_dpp v67, v26, v67 row_newbcast:3 row_mask:0xf bank_mask:0xf// 000000003630: 0A8686FA FF01531A
	v_cvt_f32_i32_e32 v68, v68                                 // 000000003638: 7E880B44
	v_cvt_f32_i32_e32 v69, v69                                 // 00000000363C: 7E8A0B45
	v_cvt_f32_i32_e32 v70, v70                                 // 000000003640: 7E8C0B46
	v_cvt_f32_i32_e32 v71, v71                                 // 000000003644: 7E8E0B47
	v_mul_f32_dpp v68, v26, v68 row_newbcast:4 row_mask:0xf bank_mask:0xf// 000000003648: 0A8888FA FF01541A
	v_mul_f32_dpp v69, v26, v69 row_newbcast:5 row_mask:0xf bank_mask:0xf// 000000003650: 0A8A8AFA FF01551A
	v_mul_f32_dpp v70, v26, v70 row_newbcast:6 row_mask:0xf bank_mask:0xf// 000000003658: 0A8C8CFA FF01561A
	v_mul_f32_dpp v71, v26, v71 row_newbcast:7 row_mask:0xf bank_mask:0xf// 000000003660: 0A8E8EFA FF01571A
	v_cvt_f32_i32_e32 v72, v72                                 // 000000003668: 7E900B48
	v_cvt_f32_i32_e32 v73, v73                                 // 00000000366C: 7E920B49
	v_cvt_f32_i32_e32 v74, v74                                 // 000000003670: 7E940B4A
	v_cvt_f32_i32_e32 v75, v75                                 // 000000003674: 7E960B4B
	v_mul_f32_dpp v72, v26, v72 row_newbcast:4 row_mask:0xf bank_mask:0xf// 000000003678: 0A9090FA FF01541A
	v_mul_f32_dpp v73, v26, v73 row_newbcast:5 row_mask:0xf bank_mask:0xf// 000000003680: 0A9292FA FF01551A
	v_mul_f32_dpp v74, v26, v74 row_newbcast:6 row_mask:0xf bank_mask:0xf// 000000003688: 0A9494FA FF01561A
	v_mul_f32_dpp v75, v26, v75 row_newbcast:7 row_mask:0xf bank_mask:0xf// 000000003690: 0A9696FA FF01571A
	v_mov_b32_e32 v4, v30                                      // 000000003698: 7E08031E
	v_mov_b32_e32 v5, v4                                       // 00000000369C: 7E0A0304
	v_pk_mul_f32 v[44:45], v[4:5], v[44:45]                    // 0000000036A0: D3B1402C 18025904
	v_pk_mul_f32 v[60:61], v[4:5], v[60:61]                    // 0000000036A8: D3B1403C 18027904
	v_pk_mul_f32 v[46:47], v[4:5], v[46:47]                    // 0000000036B0: D3B1402E 18025D04
	v_pk_mul_f32 v[62:63], v[4:5], v[62:63]                    // 0000000036B8: D3B1403E 18027D04
	v_pk_mul_f32 v[52:53], v[4:5], v[52:53]                    // 0000000036C0: D3B14034 18026904
	v_pk_mul_f32 v[68:69], v[4:5], v[68:69]                    // 0000000036C8: D3B14044 18028904
	v_pk_mul_f32 v[54:55], v[4:5], v[54:55]                    // 0000000036D0: D3B14036 18026D04
	v_pk_mul_f32 v[70:71], v[4:5], v[70:71]                    // 0000000036D8: D3B14046 18028D04
	v_mov_b32_e32 v4, v31                                      // 0000000036E0: 7E08031F
	v_mov_b32_e32 v5, v4                                       // 0000000036E4: 7E0A0304
	v_pk_mul_f32 v[48:49], v[4:5], v[48:49]                    // 0000000036E8: D3B14030 18026104
	v_pk_mul_f32 v[64:65], v[4:5], v[64:65]                    // 0000000036F0: D3B14040 18028104
	v_pk_mul_f32 v[50:51], v[4:5], v[50:51]                    // 0000000036F8: D3B14032 18026504
	v_pk_mul_f32 v[66:67], v[4:5], v[66:67]                    // 000000003700: D3B14042 18028504
	v_pk_mul_f32 v[56:57], v[4:5], v[56:57]                    // 000000003708: D3B14038 18027104
	v_pk_mul_f32 v[72:73], v[4:5], v[72:73]                    // 000000003710: D3B14048 18029104
	v_pk_mul_f32 v[58:59], v[4:5], v[58:59]                    // 000000003718: D3B1403A 18027504
	v_pk_mul_f32 v[74:75], v[4:5], v[74:75]                    // 000000003720: D3B1404A 18029504
	s_cmp_eq_u32 s88, 0                                        // 000000003728: BF068058
	s_cbranch_scc0 label_05BD                                  // 00000000372C: BF840271
	s_cmp_eq_u32 s89, 0                                        // 000000003730: BF068059
	s_cbranch_scc1 label_03F3                                  // 000000003734: BF8500A5
	v_mov_b32_e32 v8, v1                                       // 000000003738: 7E100301
	v_mov_b32_e32 v9, v1                                       // 00000000373C: 7E120301
	s_mov_b32 s60, s6                                          // 000000003740: BEBC0006
	s_mov_b32 s61, s6                                          // 000000003744: BEBD0006
	v_pk_mul_f32 v[4:5], v[44:45], v[44:45]                    // 000000003748: D3B14004 1802592C
	v_pk_mul_f32 v[6:7], v[46:47], v[46:47]                    // 000000003750: D3B14006 18025D2E
	v_pk_fma_f32 v[4:5], v[4:5], s[78:79], v[8:9]              // 000000003758: D3B04004 1C209D04
	v_pk_fma_f32 v[6:7], v[6:7], s[78:79], v[8:9]              // 000000003760: D3B04006 1C209D06
	v_pk_mul_f32 v[4:5], v[4:5], v[44:45]                      // 000000003768: D3B14004 18025904
	v_pk_mul_f32 v[6:7], v[6:7], v[46:47]                      // 000000003770: D3B14006 18025D06
	v_pk_mul_f32 v[4:5], v[4:5], s[60:61]                      // 000000003778: D3B14004 18007904
	v_pk_mul_f32 v[6:7], v[6:7], s[60:61]                      // 000000003780: D3B14006 18007906
	v_exp_f32_e32 v4, v4                                       // 000000003788: 7E084104
	v_exp_f32_e32 v5, v5                                       // 00000000378C: 7E0A4105
	v_exp_f32_e32 v6, v6                                       // 000000003790: 7E0C4106
	v_exp_f32_e32 v7, v7                                       // 000000003794: 7E0E4107
	v_add_f32_e64 v4, v4, 1.0                                  // 000000003798: D1010004 0001E504
	v_add_f32_e64 v5, v5, 1.0                                  // 0000000037A0: D1010005 0001E505
	v_add_f32_e64 v6, v6, 1.0                                  // 0000000037A8: D1010006 0001E506
	v_add_f32_e64 v7, v7, 1.0                                  // 0000000037B0: D1010007 0001E507
	v_rcp_f32_e32 v4, v4                                       // 0000000037B8: 7E084504
	v_rcp_f32_e32 v5, v5                                       // 0000000037BC: 7E0A4505
	v_rcp_f32_e32 v6, v6                                       // 0000000037C0: 7E0C4506
	v_rcp_f32_e32 v7, v7                                       // 0000000037C4: 7E0E4507
	v_mul_f32_e32 v44, v44, v4                                 // 0000000037C8: 0A58092C
	v_mul_f32_e32 v45, v45, v5                                 // 0000000037CC: 0A5A0B2D
	v_mul_f32_e32 v46, v46, v6                                 // 0000000037D0: 0A5C0D2E
	v_mul_f32_e32 v47, v47, v7                                 // 0000000037D4: 0A5E0F2F
	v_mul_f32_e32 v44, v44, v60                                // 0000000037D8: 0A58792C
	v_mul_f32_e32 v45, v45, v61                                // 0000000037DC: 0A5A7B2D
	v_mul_f32_e32 v46, v46, v62                                // 0000000037E0: 0A5C7D2E
	v_mul_f32_e32 v47, v47, v63                                // 0000000037E4: 0A5E7F2F
	v_pk_mul_f32 v[4:5], v[48:49], v[48:49]                    // 0000000037E8: D3B14004 18026130
	v_pk_mul_f32 v[6:7], v[50:51], v[50:51]                    // 0000000037F0: D3B14006 18026532
	v_pk_fma_f32 v[4:5], v[4:5], s[78:79], v[8:9]              // 0000000037F8: D3B04004 1C209D04
	v_pk_fma_f32 v[6:7], v[6:7], s[78:79], v[8:9]              // 000000003800: D3B04006 1C209D06
	v_pk_mul_f32 v[4:5], v[4:5], v[48:49]                      // 000000003808: D3B14004 18026104
	v_pk_mul_f32 v[6:7], v[6:7], v[50:51]                      // 000000003810: D3B14006 18026506
	v_pk_mul_f32 v[4:5], v[4:5], s[60:61]                      // 000000003818: D3B14004 18007904
	v_pk_mul_f32 v[6:7], v[6:7], s[60:61]                      // 000000003820: D3B14006 18007906
	v_exp_f32_e32 v4, v4                                       // 000000003828: 7E084104
	v_exp_f32_e32 v5, v5                                       // 00000000382C: 7E0A4105
	v_exp_f32_e32 v6, v6                                       // 000000003830: 7E0C4106
	v_exp_f32_e32 v7, v7                                       // 000000003834: 7E0E4107
	v_add_f32_e64 v4, v4, 1.0                                  // 000000003838: D1010004 0001E504
	v_add_f32_e64 v5, v5, 1.0                                  // 000000003840: D1010005 0001E505
	v_add_f32_e64 v6, v6, 1.0                                  // 000000003848: D1010006 0001E506
	v_add_f32_e64 v7, v7, 1.0                                  // 000000003850: D1010007 0001E507
	v_rcp_f32_e32 v4, v4                                       // 000000003858: 7E084504
	v_rcp_f32_e32 v5, v5                                       // 00000000385C: 7E0A4505
	v_rcp_f32_e32 v6, v6                                       // 000000003860: 7E0C4506
	v_rcp_f32_e32 v7, v7                                       // 000000003864: 7E0E4507
	v_mul_f32_e32 v48, v48, v4                                 // 000000003868: 0A600930
	v_mul_f32_e32 v49, v49, v5                                 // 00000000386C: 0A620B31
	v_mul_f32_e32 v50, v50, v6                                 // 000000003870: 0A640D32
	v_mul_f32_e32 v51, v51, v7                                 // 000000003874: 0A660F33
	v_mul_f32_e32 v48, v48, v64                                // 000000003878: 0A608130
	v_mul_f32_e32 v49, v49, v65                                // 00000000387C: 0A628331
	v_mul_f32_e32 v50, v50, v66                                // 000000003880: 0A648532
	v_mul_f32_e32 v51, v51, v67                                // 000000003884: 0A668733
	v_pk_mul_f32 v[4:5], v[52:53], v[52:53]                    // 000000003888: D3B14004 18026934
	v_pk_mul_f32 v[6:7], v[54:55], v[54:55]                    // 000000003890: D3B14006 18026D36
	v_pk_fma_f32 v[4:5], v[4:5], s[78:79], v[8:9]              // 000000003898: D3B04004 1C209D04
	v_pk_fma_f32 v[6:7], v[6:7], s[78:79], v[8:9]              // 0000000038A0: D3B04006 1C209D06
	v_pk_mul_f32 v[4:5], v[4:5], v[52:53]                      // 0000000038A8: D3B14004 18026904
	v_pk_mul_f32 v[6:7], v[6:7], v[54:55]                      // 0000000038B0: D3B14006 18026D06
	v_pk_mul_f32 v[4:5], v[4:5], s[60:61]                      // 0000000038B8: D3B14004 18007904
	v_pk_mul_f32 v[6:7], v[6:7], s[60:61]                      // 0000000038C0: D3B14006 18007906
	v_exp_f32_e32 v4, v4                                       // 0000000038C8: 7E084104
	v_exp_f32_e32 v5, v5                                       // 0000000038CC: 7E0A4105
	v_exp_f32_e32 v6, v6                                       // 0000000038D0: 7E0C4106
	v_exp_f32_e32 v7, v7                                       // 0000000038D4: 7E0E4107
	v_add_f32_e64 v4, v4, 1.0                                  // 0000000038D8: D1010004 0001E504
	v_add_f32_e64 v5, v5, 1.0                                  // 0000000038E0: D1010005 0001E505
	v_add_f32_e64 v6, v6, 1.0                                  // 0000000038E8: D1010006 0001E506
	v_add_f32_e64 v7, v7, 1.0                                  // 0000000038F0: D1010007 0001E507
	v_rcp_f32_e32 v4, v4                                       // 0000000038F8: 7E084504
	v_rcp_f32_e32 v5, v5                                       // 0000000038FC: 7E0A4505
	v_rcp_f32_e32 v6, v6                                       // 000000003900: 7E0C4506
	v_rcp_f32_e32 v7, v7                                       // 000000003904: 7E0E4507
	v_mul_f32_e32 v52, v52, v4                                 // 000000003908: 0A680934
	v_mul_f32_e32 v53, v53, v5                                 // 00000000390C: 0A6A0B35
	v_mul_f32_e32 v54, v54, v6                                 // 000000003910: 0A6C0D36
	v_mul_f32_e32 v55, v55, v7                                 // 000000003914: 0A6E0F37
	v_mul_f32_e32 v52, v52, v68                                // 000000003918: 0A688934
	v_mul_f32_e32 v53, v53, v69                                // 00000000391C: 0A6A8B35
	v_mul_f32_e32 v54, v54, v70                                // 000000003920: 0A6C8D36
	v_mul_f32_e32 v55, v55, v71                                // 000000003924: 0A6E8F37
	v_pk_mul_f32 v[4:5], v[56:57], v[56:57]                    // 000000003928: D3B14004 18027138
	v_pk_mul_f32 v[6:7], v[58:59], v[58:59]                    // 000000003930: D3B14006 1802753A
	v_pk_fma_f32 v[4:5], v[4:5], s[78:79], v[8:9]              // 000000003938: D3B04004 1C209D04
	v_pk_fma_f32 v[6:7], v[6:7], s[78:79], v[8:9]              // 000000003940: D3B04006 1C209D06
	v_pk_mul_f32 v[4:5], v[4:5], v[56:57]                      // 000000003948: D3B14004 18027104
	v_pk_mul_f32 v[6:7], v[6:7], v[58:59]                      // 000000003950: D3B14006 18027506
	v_pk_mul_f32 v[4:5], v[4:5], s[60:61]                      // 000000003958: D3B14004 18007904
	v_pk_mul_f32 v[6:7], v[6:7], s[60:61]                      // 000000003960: D3B14006 18007906
	v_exp_f32_e32 v4, v4                                       // 000000003968: 7E084104
	v_exp_f32_e32 v5, v5                                       // 00000000396C: 7E0A4105
	v_exp_f32_e32 v6, v6                                       // 000000003970: 7E0C4106
	v_exp_f32_e32 v7, v7                                       // 000000003974: 7E0E4107
	v_add_f32_e64 v4, v4, 1.0                                  // 000000003978: D1010004 0001E504
	v_add_f32_e64 v5, v5, 1.0                                  // 000000003980: D1010005 0001E505
	v_add_f32_e64 v6, v6, 1.0                                  // 000000003988: D1010006 0001E506
	v_add_f32_e64 v7, v7, 1.0                                  // 000000003990: D1010007 0001E507
	v_rcp_f32_e32 v4, v4                                       // 000000003998: 7E084504
	v_rcp_f32_e32 v5, v5                                       // 00000000399C: 7E0A4505
	v_rcp_f32_e32 v6, v6                                       // 0000000039A0: 7E0C4506
	v_rcp_f32_e32 v7, v7                                       // 0000000039A4: 7E0E4507
	v_mul_f32_e32 v56, v56, v4                                 // 0000000039A8: 0A700938
	v_mul_f32_e32 v57, v57, v5                                 // 0000000039AC: 0A720B39
	v_mul_f32_e32 v58, v58, v6                                 // 0000000039B0: 0A740D3A
	v_mul_f32_e32 v59, v59, v7                                 // 0000000039B4: 0A760F3B
	v_mul_f32_e32 v56, v56, v72                                // 0000000039B8: 0A709138
	v_mul_f32_e32 v57, v57, v73                                // 0000000039BC: 0A729339
	v_mul_f32_e32 v58, v58, v74                                // 0000000039C0: 0A74953A
	v_mul_f32_e32 v59, v59, v75                                // 0000000039C4: 0A76973B
	s_branch label_0473                                        // 0000000039C8: BF820080

00000000000039cc <label_03F3>:
	v_mul_f32_e64 v4, -v44, s6                                 // 0000000039CC: D1050004 20000D2C
	v_mul_f32_e64 v5, -v45, s6                                 // 0000000039D4: D1050005 20000D2D
	v_mul_f32_e64 v6, -v46, s6                                 // 0000000039DC: D1050006 20000D2E
	v_mul_f32_e64 v7, -v47, s6                                 // 0000000039E4: D1050007 20000D2F
	v_exp_f32_e32 v4, v4                                       // 0000000039EC: 7E084104
	v_exp_f32_e32 v5, v5                                       // 0000000039F0: 7E0A4105
	v_exp_f32_e32 v6, v6                                       // 0000000039F4: 7E0C4106
	v_exp_f32_e32 v7, v7                                       // 0000000039F8: 7E0E4107
	v_add_f32_e64 v4, v4, 1.0                                  // 0000000039FC: D1010004 0001E504
	v_add_f32_e64 v5, v5, 1.0                                  // 000000003A04: D1010005 0001E505
	v_add_f32_e64 v6, v6, 1.0                                  // 000000003A0C: D1010006 0001E506
	v_add_f32_e64 v7, v7, 1.0                                  // 000000003A14: D1010007 0001E507
	v_rcp_f32_e32 v4, v4                                       // 000000003A1C: 7E084504
	v_rcp_f32_e32 v5, v5                                       // 000000003A20: 7E0A4505
	v_rcp_f32_e32 v6, v6                                       // 000000003A24: 7E0C4506
	v_rcp_f32_e32 v7, v7                                       // 000000003A28: 7E0E4507
	v_mul_f32_e32 v44, v44, v4                                 // 000000003A2C: 0A58092C
	v_mul_f32_e32 v45, v45, v5                                 // 000000003A30: 0A5A0B2D
	v_mul_f32_e32 v46, v46, v6                                 // 000000003A34: 0A5C0D2E
	v_mul_f32_e32 v47, v47, v7                                 // 000000003A38: 0A5E0F2F
	v_mul_f32_e32 v44, v44, v60                                // 000000003A3C: 0A58792C
	v_mul_f32_e32 v45, v45, v61                                // 000000003A40: 0A5A7B2D
	v_mul_f32_e32 v46, v46, v62                                // 000000003A44: 0A5C7D2E
	v_mul_f32_e32 v47, v47, v63                                // 000000003A48: 0A5E7F2F
	v_mul_f32_e64 v4, -v48, s6                                 // 000000003A4C: D1050004 20000D30
	v_mul_f32_e64 v5, -v49, s6                                 // 000000003A54: D1050005 20000D31
	v_mul_f32_e64 v6, -v50, s6                                 // 000000003A5C: D1050006 20000D32
	v_mul_f32_e64 v7, -v51, s6                                 // 000000003A64: D1050007 20000D33
	v_exp_f32_e32 v4, v4                                       // 000000003A6C: 7E084104
	v_exp_f32_e32 v5, v5                                       // 000000003A70: 7E0A4105
	v_exp_f32_e32 v6, v6                                       // 000000003A74: 7E0C4106
	v_exp_f32_e32 v7, v7                                       // 000000003A78: 7E0E4107
	v_add_f32_e64 v4, v4, 1.0                                  // 000000003A7C: D1010004 0001E504
	v_add_f32_e64 v5, v5, 1.0                                  // 000000003A84: D1010005 0001E505
	v_add_f32_e64 v6, v6, 1.0                                  // 000000003A8C: D1010006 0001E506
	v_add_f32_e64 v7, v7, 1.0                                  // 000000003A94: D1010007 0001E507
	v_rcp_f32_e32 v4, v4                                       // 000000003A9C: 7E084504
	v_rcp_f32_e32 v5, v5                                       // 000000003AA0: 7E0A4505
	v_rcp_f32_e32 v6, v6                                       // 000000003AA4: 7E0C4506
	v_rcp_f32_e32 v7, v7                                       // 000000003AA8: 7E0E4507
	v_mul_f32_e32 v48, v48, v4                                 // 000000003AAC: 0A600930
	v_mul_f32_e32 v49, v49, v5                                 // 000000003AB0: 0A620B31
	v_mul_f32_e32 v50, v50, v6                                 // 000000003AB4: 0A640D32
	v_mul_f32_e32 v51, v51, v7                                 // 000000003AB8: 0A660F33
	v_mul_f32_e32 v48, v48, v64                                // 000000003ABC: 0A608130
	v_mul_f32_e32 v49, v49, v65                                // 000000003AC0: 0A628331
	v_mul_f32_e32 v50, v50, v66                                // 000000003AC4: 0A648532
	v_mul_f32_e32 v51, v51, v67                                // 000000003AC8: 0A668733
	v_mul_f32_e64 v4, -v52, s6                                 // 000000003ACC: D1050004 20000D34
	v_mul_f32_e64 v5, -v53, s6                                 // 000000003AD4: D1050005 20000D35
	v_mul_f32_e64 v6, -v54, s6                                 // 000000003ADC: D1050006 20000D36
	v_mul_f32_e64 v7, -v55, s6                                 // 000000003AE4: D1050007 20000D37
	v_exp_f32_e32 v4, v4                                       // 000000003AEC: 7E084104
	v_exp_f32_e32 v5, v5                                       // 000000003AF0: 7E0A4105
	v_exp_f32_e32 v6, v6                                       // 000000003AF4: 7E0C4106
	v_exp_f32_e32 v7, v7                                       // 000000003AF8: 7E0E4107
	v_add_f32_e64 v4, v4, 1.0                                  // 000000003AFC: D1010004 0001E504
	v_add_f32_e64 v5, v5, 1.0                                  // 000000003B04: D1010005 0001E505
	v_add_f32_e64 v6, v6, 1.0                                  // 000000003B0C: D1010006 0001E506
	v_add_f32_e64 v7, v7, 1.0                                  // 000000003B14: D1010007 0001E507
	v_rcp_f32_e32 v4, v4                                       // 000000003B1C: 7E084504
	v_rcp_f32_e32 v5, v5                                       // 000000003B20: 7E0A4505
	v_rcp_f32_e32 v6, v6                                       // 000000003B24: 7E0C4506
	v_rcp_f32_e32 v7, v7                                       // 000000003B28: 7E0E4507
	v_mul_f32_e32 v52, v52, v4                                 // 000000003B2C: 0A680934
	v_mul_f32_e32 v53, v53, v5                                 // 000000003B30: 0A6A0B35
	v_mul_f32_e32 v54, v54, v6                                 // 000000003B34: 0A6C0D36
	v_mul_f32_e32 v55, v55, v7                                 // 000000003B38: 0A6E0F37
	v_mul_f32_e32 v52, v52, v68                                // 000000003B3C: 0A688934
	v_mul_f32_e32 v53, v53, v69                                // 000000003B40: 0A6A8B35
	v_mul_f32_e32 v54, v54, v70                                // 000000003B44: 0A6C8D36
	v_mul_f32_e32 v55, v55, v71                                // 000000003B48: 0A6E8F37
	v_mul_f32_e64 v4, -v56, s6                                 // 000000003B4C: D1050004 20000D38
	v_mul_f32_e64 v5, -v57, s6                                 // 000000003B54: D1050005 20000D39
	v_mul_f32_e64 v6, -v58, s6                                 // 000000003B5C: D1050006 20000D3A
	v_mul_f32_e64 v7, -v59, s6                                 // 000000003B64: D1050007 20000D3B
	v_exp_f32_e32 v4, v4                                       // 000000003B6C: 7E084104
	v_exp_f32_e32 v5, v5                                       // 000000003B70: 7E0A4105
	v_exp_f32_e32 v6, v6                                       // 000000003B74: 7E0C4106
	v_exp_f32_e32 v7, v7                                       // 000000003B78: 7E0E4107
	v_add_f32_e64 v4, v4, 1.0                                  // 000000003B7C: D1010004 0001E504
	v_add_f32_e64 v5, v5, 1.0                                  // 000000003B84: D1010005 0001E505
	v_add_f32_e64 v6, v6, 1.0                                  // 000000003B8C: D1010006 0001E506
	v_add_f32_e64 v7, v7, 1.0                                  // 000000003B94: D1010007 0001E507
	v_rcp_f32_e32 v4, v4                                       // 000000003B9C: 7E084504
	v_rcp_f32_e32 v5, v5                                       // 000000003BA0: 7E0A4505
	v_rcp_f32_e32 v6, v6                                       // 000000003BA4: 7E0C4506
	v_rcp_f32_e32 v7, v7                                       // 000000003BA8: 7E0E4507
	v_mul_f32_e32 v56, v56, v4                                 // 000000003BAC: 0A700938
	v_mul_f32_e32 v57, v57, v5                                 // 000000003BB0: 0A720B39
	v_mul_f32_e32 v58, v58, v6                                 // 000000003BB4: 0A740D3A
	v_mul_f32_e32 v59, v59, v7                                 // 000000003BB8: 0A760F3B
	v_mul_f32_e32 v56, v56, v72                                // 000000003BBC: 0A709138
	v_mul_f32_e32 v57, v57, v73                                // 000000003BC0: 0A729339
	v_mul_f32_e32 v58, v58, v74                                // 000000003BC4: 0A74953A
	v_mul_f32_e32 v59, v59, v75                                // 000000003BC8: 0A76973B

0000000000003bcc <label_0473>:
	v_cmp_u_f32_e64 s[46:47], v44, v44                         // 000000003BCC: D048002E 0002592C
	v_add3_u32 v16, v44, v19, 1                                // 000000003BD4: D1FF0010 0206272C
	v_cndmask_b32_e64 v4, v16, v18, s[46:47]                   // 000000003BDC: D1000004 00BA2510
	v_cmp_u_f32_e64 s[46:47], v45, v45                         // 000000003BE4: D048002E 00025B2D
	v_add3_u32 v16, v45, v19, 1                                // 000000003BEC: D1FF0010 0206272D
	v_cndmask_b32_e64 v5, v16, v18, s[46:47]                   // 000000003BF4: D1000005 00BA2510
	v_perm_b32 v44, v5, v4, s52                                // 000000003BFC: D1ED002C 00D20905
	v_cmp_u_f32_e64 s[46:47], v46, v46                         // 000000003C04: D048002E 00025D2E
	v_add3_u32 v16, v46, v19, 1                                // 000000003C0C: D1FF0010 0206272E
	v_cndmask_b32_e64 v4, v16, v18, s[46:47]                   // 000000003C14: D1000004 00BA2510
	v_cmp_u_f32_e64 s[46:47], v47, v47                         // 000000003C1C: D048002E 00025F2F
	v_add3_u32 v16, v47, v19, 1                                // 000000003C24: D1FF0010 0206272F
	v_cndmask_b32_e64 v5, v16, v18, s[46:47]                   // 000000003C2C: D1000005 00BA2510
	v_perm_b32 v45, v5, v4, s52                                // 000000003C34: D1ED002D 00D20905
	v_cmp_u_f32_e64 s[46:47], v48, v48                         // 000000003C3C: D048002E 00026130
	v_add3_u32 v16, v48, v19, 1                                // 000000003C44: D1FF0010 02062730
	v_cndmask_b32_e64 v4, v16, v18, s[46:47]                   // 000000003C4C: D1000004 00BA2510
	v_cmp_u_f32_e64 s[46:47], v49, v49                         // 000000003C54: D048002E 00026331
	v_add3_u32 v16, v49, v19, 1                                // 000000003C5C: D1FF0010 02062731
	v_cndmask_b32_e64 v5, v16, v18, s[46:47]                   // 000000003C64: D1000005 00BA2510
	v_perm_b32 v46, v5, v4, s52                                // 000000003C6C: D1ED002E 00D20905
	v_cmp_u_f32_e64 s[46:47], v50, v50                         // 000000003C74: D048002E 00026532
	v_add3_u32 v16, v50, v19, 1                                // 000000003C7C: D1FF0010 02062732
	v_cndmask_b32_e64 v4, v16, v18, s[46:47]                   // 000000003C84: D1000004 00BA2510
	v_cmp_u_f32_e64 s[46:47], v51, v51                         // 000000003C8C: D048002E 00026733
	v_add3_u32 v16, v51, v19, 1                                // 000000003C94: D1FF0010 02062733
	v_cndmask_b32_e64 v5, v16, v18, s[46:47]                   // 000000003C9C: D1000005 00BA2510
	v_perm_b32 v47, v5, v4, s52                                // 000000003CA4: D1ED002F 00D20905
	v_cmp_u_f32_e64 s[46:47], v52, v52                         // 000000003CAC: D048002E 00026934
	v_add3_u32 v16, v52, v19, 1                                // 000000003CB4: D1FF0010 02062734
	v_cndmask_b32_e64 v4, v16, v18, s[46:47]                   // 000000003CBC: D1000004 00BA2510
	v_cmp_u_f32_e64 s[46:47], v53, v53                         // 000000003CC4: D048002E 00026B35
	v_add3_u32 v16, v53, v19, 1                                // 000000003CCC: D1FF0010 02062735
	v_cndmask_b32_e64 v5, v16, v18, s[46:47]                   // 000000003CD4: D1000005 00BA2510
	v_perm_b32 v48, v5, v4, s52                                // 000000003CDC: D1ED0030 00D20905
	v_cmp_u_f32_e64 s[46:47], v54, v54                         // 000000003CE4: D048002E 00026D36
	v_add3_u32 v16, v54, v19, 1                                // 000000003CEC: D1FF0010 02062736
	v_cndmask_b32_e64 v4, v16, v18, s[46:47]                   // 000000003CF4: D1000004 00BA2510
	v_cmp_u_f32_e64 s[46:47], v55, v55                         // 000000003CFC: D048002E 00026F37
	v_add3_u32 v16, v55, v19, 1                                // 000000003D04: D1FF0010 02062737
	v_cndmask_b32_e64 v5, v16, v18, s[46:47]                   // 000000003D0C: D1000005 00BA2510
	v_perm_b32 v49, v5, v4, s52                                // 000000003D14: D1ED0031 00D20905
	v_cmp_u_f32_e64 s[46:47], v56, v56                         // 000000003D1C: D048002E 00027138
	v_add3_u32 v16, v56, v19, 1                                // 000000003D24: D1FF0010 02062738
	v_cndmask_b32_e64 v4, v16, v18, s[46:47]                   // 000000003D2C: D1000004 00BA2510
	v_cmp_u_f32_e64 s[46:47], v57, v57                         // 000000003D34: D048002E 00027339
	v_add3_u32 v16, v57, v19, 1                                // 000000003D3C: D1FF0010 02062739
	v_cndmask_b32_e64 v5, v16, v18, s[46:47]                   // 000000003D44: D1000005 00BA2510
	v_perm_b32 v50, v5, v4, s52                                // 000000003D4C: D1ED0032 00D20905
	v_cmp_u_f32_e64 s[46:47], v58, v58                         // 000000003D54: D048002E 0002753A
	v_add3_u32 v16, v58, v19, 1                                // 000000003D5C: D1FF0010 0206273A
	v_cndmask_b32_e64 v4, v16, v18, s[46:47]                   // 000000003D64: D1000004 00BA2510
	v_cmp_u_f32_e64 s[46:47], v59, v59                         // 000000003D6C: D048002E 0002773B
	v_add3_u32 v16, v59, v19, 1                                // 000000003D74: D1FF0010 0206273B
	v_cndmask_b32_e64 v5, v16, v18, s[46:47]                   // 000000003D7C: D1000005 00BA2510
	v_perm_b32 v51, v5, v4, s52                                // 000000003D84: D1ED0033 00D20905
	ds_write_b64 v20, v[44:45]                                 // 000000003D8C: D89A0000 00002C14
	ds_write_b64 v20, v[46:47] offset:4352                     // 000000003D94: D89A1100 00002E14
	ds_write_b64 v20, v[48:49] offset:2176                     // 000000003D9C: D89A0880 00003014
	ds_write_b64 v20, v[50:51] offset:6528                     // 000000003DA4: D89A1980 00003214
	v_lshrrev_b32_e32 v4, 5, v0                                // 000000003DAC: 20080085
	v_xor_b32_e32 v5, 1, v4                                    // 000000003DB0: 2A0A0881
	s_mul_i32 s60, s65, 2                                      // 000000003DB4: 923C8241
	s_cmp_eq_u32 s88, 0                                        // 000000003DB8: BF068058
	s_cselect_b32 s61, 1, 4                                    // 000000003DBC: 853D8481
	s_mul_i32 s60, s61, s60                                    // 000000003DC0: 923C3C3D
	v_readlane_b32 s82, v3, 0                                  // 000000003DC4: D2890052 00010103
	s_lshr_b32 s61, s82, 24                                    // 000000003DCC: 8F3D9852
	s_and_b32 s82, s82, 0xffffff                               // 000000003DD0: 8652FF52 00FFFFFF
	s_mul_i32 s82, s82, s71                                    // 000000003DD8: 92524752
	s_mul_i32 s61, s60, s61                                    // 000000003DDC: 923D3D3C
	s_add_u32 s82, s82, s61                                    // 000000003DE0: 80523D52
	v_mul_lo_u32 v6, v5, s82                                   // 000000003DE4: D2850006 0000A505
	v_readlane_b32 s82, v3, 1                                  // 000000003DEC: D2890052 00010303
	s_lshr_b32 s61, s82, 24                                    // 000000003DF4: 8F3D9852
	s_and_b32 s82, s82, 0xffffff                               // 000000003DF8: 8652FF52 00FFFFFF
	s_mul_i32 s82, s82, s71                                    // 000000003E00: 92524752
	s_mul_i32 s61, s60, s61                                    // 000000003E04: 923D3D3C
	s_add_u32 s82, s82, s61                                    // 000000003E08: 80523D52
	v_mul_lo_u32 v7, v4, s82                                   // 000000003E0C: D2850007 0000A504
	v_add_u32_e32 v36, v6, v7                                  // 000000003E14: 68480F06
	v_readlane_b32 s82, v3, 2                                  // 000000003E18: D2890052 00010503
	s_lshr_b32 s61, s82, 24                                    // 000000003E20: 8F3D9852
	s_and_b32 s82, s82, 0xffffff                               // 000000003E24: 8652FF52 00FFFFFF
	s_mul_i32 s82, s82, s71                                    // 000000003E2C: 92524752
	s_mul_i32 s61, s60, s61                                    // 000000003E30: 923D3D3C
	s_add_u32 s82, s82, s61                                    // 000000003E34: 80523D52
	v_mul_lo_u32 v6, v5, s82                                   // 000000003E38: D2850006 0000A505
	v_readlane_b32 s82, v3, 3                                  // 000000003E40: D2890052 00010703
	s_lshr_b32 s61, s82, 24                                    // 000000003E48: 8F3D9852
	s_and_b32 s82, s82, 0xffffff                               // 000000003E4C: 8652FF52 00FFFFFF
	s_mul_i32 s82, s82, s71                                    // 000000003E54: 92524752
	s_mul_i32 s61, s60, s61                                    // 000000003E58: 923D3D3C
	s_add_u32 s82, s82, s61                                    // 000000003E5C: 80523D52
	v_mul_lo_u32 v7, v4, s82                                   // 000000003E60: D2850007 0000A504
	v_add_u32_e32 v37, v6, v7                                  // 000000003E68: 684A0F06
	v_readlane_b32 s82, v3, 4                                  // 000000003E6C: D2890052 00010903
	s_lshr_b32 s61, s82, 24                                    // 000000003E74: 8F3D9852
	s_and_b32 s82, s82, 0xffffff                               // 000000003E78: 8652FF52 00FFFFFF
	s_mul_i32 s82, s82, s71                                    // 000000003E80: 92524752
	s_mul_i32 s61, s60, s61                                    // 000000003E84: 923D3D3C
	s_add_u32 s82, s82, s61                                    // 000000003E88: 80523D52
	v_mul_lo_u32 v6, v5, s82                                   // 000000003E8C: D2850006 0000A505
	v_readlane_b32 s82, v3, 5                                  // 000000003E94: D2890052 00010B03
	s_lshr_b32 s61, s82, 24                                    // 000000003E9C: 8F3D9852
	s_and_b32 s82, s82, 0xffffff                               // 000000003EA0: 8652FF52 00FFFFFF
	s_mul_i32 s82, s82, s71                                    // 000000003EA8: 92524752
	s_mul_i32 s61, s60, s61                                    // 000000003EAC: 923D3D3C
	s_add_u32 s82, s82, s61                                    // 000000003EB0: 80523D52
	v_mul_lo_u32 v7, v4, s82                                   // 000000003EB4: D2850007 0000A504
	v_add_u32_e32 v38, v6, v7                                  // 000000003EBC: 684C0F06
	v_readlane_b32 s82, v3, 6                                  // 000000003EC0: D2890052 00010D03
	s_lshr_b32 s61, s82, 24                                    // 000000003EC8: 8F3D9852
	s_and_b32 s82, s82, 0xffffff                               // 000000003ECC: 8652FF52 00FFFFFF
	s_mul_i32 s82, s82, s71                                    // 000000003ED4: 92524752
	s_mul_i32 s61, s60, s61                                    // 000000003ED8: 923D3D3C
	s_add_u32 s82, s82, s61                                    // 000000003EDC: 80523D52
	v_mul_lo_u32 v6, v5, s82                                   // 000000003EE0: D2850006 0000A505
	v_readlane_b32 s82, v3, 7                                  // 000000003EE8: D2890052 00010F03
	s_lshr_b32 s61, s82, 24                                    // 000000003EF0: 8F3D9852
	s_and_b32 s82, s82, 0xffffff                               // 000000003EF4: 8652FF52 00FFFFFF
	s_mul_i32 s82, s82, s71                                    // 000000003EFC: 92524752
	s_mul_i32 s61, s60, s61                                    // 000000003F00: 923D3D3C
	s_add_u32 s82, s82, s61                                    // 000000003F04: 80523D52
	v_mul_lo_u32 v7, v4, s82                                   // 000000003F08: D2850007 0000A504
	v_add_u32_e32 v39, v6, v7                                  // 000000003F10: 684E0F06
	v_and_b32_e32 v4, 31, v0                                   // 000000003F14: 2608009F
	v_lshrrev_b32_e32 v4, 1, v4                                // 000000003F18: 20080881
	s_cmp_eq_u32 s88, 0                                        // 000000003F1C: BF068058
	s_cselect_b32 s61, 2, 4                                    // 000000003F20: 853D8482
	v_mul_lo_u32 v4, v4, s61                                   // 000000003F24: D2850004 00007B04
	v_and_b32_e64 v5, v0, 1                                    // 000000003F2C: D1130005 00010300
	v_add_u32_e32 v4, v4, v5                                   // 000000003F34: 68080B04
	v_lshlrev_b32_e32 v4, 2, v4                                // 000000003F38: 24080882
	v_add_u32_e32 v36, v36, v4                                 // 000000003F3C: 68480924
	v_add_u32_e32 v37, v37, v4                                 // 000000003F40: 684A0925
	v_add_u32_e32 v38, v38, v4                                 // 000000003F44: 684C0926
	v_add_u32_e32 v39, v39, v4                                 // 000000003F48: 684E0927
	s_waitcnt lgkmcnt(0)                                       // 000000003F4C: BF8CC07F
	s_barrier                                                  // 000000003F50: BF8A0000
	ds_read_b32 v44, v21                                       // 000000003F54: D86C0000 2C000015
	ds_read_b32 v45, v21 offset:64                             // 000000003F5C: D86C0040 2D000015
	ds_read_b32 v46, v21 offset:2176                           // 000000003F64: D86C0880 2E000015
	ds_read_b32 v47, v21 offset:2240                           // 000000003F6C: D86C08C0 2F000015
	ds_read_b32 v48, v21 offset:4352                           // 000000003F74: D86C1100 30000015
	ds_read_b32 v49, v21 offset:4416                           // 000000003F7C: D86C1140 31000015
	ds_read_b32 v50, v21 offset:6528                           // 000000003F84: D86C1980 32000015
	ds_read_b32 v51, v21 offset:6592                           // 000000003F8C: D86C19C0 33000015
	s_waitcnt lgkmcnt(0)                                       // 000000003F94: BF8CC07F
	s_mov_b32 s36, -1                                          // 000000003F98: BEA400C1
	s_mov_b32 s37, -1                                          // 000000003F9C: BEA500C1
	v_mov_b32_e32 v7, 0                                        // 000000003FA0: 7E0E0280
	s_or_b32 s9, s9, 0x40000                                   // 000000003FA4: 8709FF09 00040000
	s_mov_b64 exec, s[36:37]                                   // 000000003FAC: BEFE0124
	v_mov_b32_e32 v6, v36                                      // 000000003FB0: 7E0C0324
	s_mov_b64 s[60:61], 0                                      // 000000003FB4: BEBC0180
	v_readlane_b32 s82, v3, 0                                  // 000000003FB8: D2890052 00010103
	s_and_b32 s82, s82, 0xffffff                               // 000000003FC0: 8652FF52 00FFFFFF
	s_cmp_lt_u32 s82, s66                                      // 000000003FC8: BF0A4252
	s_cselect_b32 s20, s36, s60                                // 000000003FCC: 85143C24
	v_readlane_b32 s82, v3, 1                                  // 000000003FD0: D2890052 00010303
	s_and_b32 s82, s82, 0xffffff                               // 000000003FD8: 8652FF52 00FFFFFF
	s_cmp_lt_u32 s82, s66                                      // 000000003FE0: BF0A4252
	s_cselect_b32 s21, s36, s60                                // 000000003FE4: 85153C24
	s_mov_b64 exec, s[20:21]                                   // 000000003FE8: BEFE0114
	buffer_store_dword v44, v6, s[8:11], 0 offen               // 000000003FEC: E0701000 80022C06
	buffer_store_dword v46, v6, s[8:11], 0 offen offset:128    // 000000003FF4: E0701080 80022E06
	s_mov_b64 exec, s[36:37]                                   // 000000003FFC: BEFE0124
	v_mov_b32_e32 v6, v37                                      // 000000004000: 7E0C0325
	s_mov_b64 s[60:61], 0                                      // 000000004004: BEBC0180
	v_readlane_b32 s82, v3, 2                                  // 000000004008: D2890052 00010503
	s_and_b32 s82, s82, 0xffffff                               // 000000004010: 8652FF52 00FFFFFF
	s_cmp_lt_u32 s82, s66                                      // 000000004018: BF0A4252
	s_cselect_b32 s20, s36, s60                                // 00000000401C: 85143C24
	v_readlane_b32 s82, v3, 3                                  // 000000004020: D2890052 00010703
	s_and_b32 s82, s82, 0xffffff                               // 000000004028: 8652FF52 00FFFFFF
	s_cmp_lt_u32 s82, s66                                      // 000000004030: BF0A4252
	s_cselect_b32 s21, s36, s60                                // 000000004034: 85153C24
	s_mov_b64 exec, s[20:21]                                   // 000000004038: BEFE0114
	buffer_store_dword v45, v6, s[8:11], 0 offen               // 00000000403C: E0701000 80022D06
	buffer_store_dword v47, v6, s[8:11], 0 offen offset:128    // 000000004044: E0701080 80022F06
	s_mov_b64 exec, s[36:37]                                   // 00000000404C: BEFE0124
	v_mov_b32_e32 v6, v38                                      // 000000004050: 7E0C0326
	s_mov_b64 s[60:61], 0                                      // 000000004054: BEBC0180
	v_readlane_b32 s82, v3, 4                                  // 000000004058: D2890052 00010903
	s_and_b32 s82, s82, 0xffffff                               // 000000004060: 8652FF52 00FFFFFF
	s_cmp_lt_u32 s82, s66                                      // 000000004068: BF0A4252
	s_cselect_b32 s20, s36, s60                                // 00000000406C: 85143C24
	v_readlane_b32 s82, v3, 5                                  // 000000004070: D2890052 00010B03
	s_and_b32 s82, s82, 0xffffff                               // 000000004078: 8652FF52 00FFFFFF
	s_cmp_lt_u32 s82, s66                                      // 000000004080: BF0A4252
	s_cselect_b32 s21, s36, s60                                // 000000004084: 85153C24
	s_mov_b64 exec, s[20:21]                                   // 000000004088: BEFE0114
	buffer_store_dword v48, v6, s[8:11], 0 offen               // 00000000408C: E0701000 80023006
	buffer_store_dword v50, v6, s[8:11], 0 offen offset:128    // 000000004094: E0701080 80023206
	s_mov_b64 exec, s[36:37]                                   // 00000000409C: BEFE0124
	v_mov_b32_e32 v6, v39                                      // 0000000040A0: 7E0C0327
	s_mov_b64 s[60:61], 0                                      // 0000000040A4: BEBC0180
	v_readlane_b32 s82, v3, 6                                  // 0000000040A8: D2890052 00010D03
	s_and_b32 s82, s82, 0xffffff                               // 0000000040B0: 8652FF52 00FFFFFF
	s_cmp_lt_u32 s82, s66                                      // 0000000040B8: BF0A4252
	s_cselect_b32 s20, s36, s60                                // 0000000040BC: 85143C24
	v_readlane_b32 s82, v3, 7                                  // 0000000040C0: D2890052 00010F03
	s_and_b32 s82, s82, 0xffffff                               // 0000000040C8: 8652FF52 00FFFFFF
	s_cmp_lt_u32 s82, s66                                      // 0000000040D0: BF0A4252
	s_cselect_b32 s21, s36, s60                                // 0000000040D4: 85153C24
	s_mov_b64 exec, s[20:21]                                   // 0000000040D8: BEFE0114
	buffer_store_dword v49, v6, s[8:11], 0 offen               // 0000000040DC: E0701000 80023106
	buffer_store_dword v51, v6, s[8:11], 0 offen offset:128    // 0000000040E4: E0701080 80023306
	s_mov_b64 exec, s[36:37]                                   // 0000000040EC: BEFE0124
	s_branch label_0DFC                                        // 0000000040F0: BF82083C

00000000000040f4 <label_05BD>:
	ds_write_b64 v20, v[44:45]                                 // 0000000040F4: D89A0000 00002C14
	ds_write_b64 v20, v[48:49] offset:4352                     // 0000000040FC: D89A1100 00003014
	ds_write_b64 v20, v[52:53] offset:2176                     // 000000004104: D89A0880 00003414
	ds_write_b64 v20, v[56:57] offset:6528                     // 00000000410C: D89A1980 00003814
	v_lshrrev_b32_e32 v4, 5, v0                                // 000000004114: 20080085
	v_xor_b32_e32 v5, 1, v4                                    // 000000004118: 2A0A0881
	s_mul_i32 s60, s65, 2                                      // 00000000411C: 923C8241
	s_cmp_eq_u32 s88, 0                                        // 000000004120: BF068058
	s_cselect_b32 s61, 1, 4                                    // 000000004124: 853D8481
	s_mul_i32 s60, s61, s60                                    // 000000004128: 923C3C3D
	v_readlane_b32 s82, v3, 0                                  // 00000000412C: D2890052 00010103
	s_lshr_b32 s61, s82, 24                                    // 000000004134: 8F3D9852
	s_and_b32 s82, s82, 0xffffff                               // 000000004138: 8652FF52 00FFFFFF
	s_mul_i32 s82, s82, s71                                    // 000000004140: 92524752
	s_mul_i32 s61, s60, s61                                    // 000000004144: 923D3D3C
	s_add_u32 s82, s82, s61                                    // 000000004148: 80523D52
	v_mul_lo_u32 v6, v5, s82                                   // 00000000414C: D2850006 0000A505
	v_readlane_b32 s82, v3, 1                                  // 000000004154: D2890052 00010303
	s_lshr_b32 s61, s82, 24                                    // 00000000415C: 8F3D9852
	s_and_b32 s82, s82, 0xffffff                               // 000000004160: 8652FF52 00FFFFFF
	s_mul_i32 s82, s82, s71                                    // 000000004168: 92524752
	s_mul_i32 s61, s60, s61                                    // 00000000416C: 923D3D3C
	s_add_u32 s82, s82, s61                                    // 000000004170: 80523D52
	v_mul_lo_u32 v7, v4, s82                                   // 000000004174: D2850007 0000A504
	v_add_u32_e32 v36, v6, v7                                  // 00000000417C: 68480F06
	v_readlane_b32 s82, v3, 2                                  // 000000004180: D2890052 00010503
	s_lshr_b32 s61, s82, 24                                    // 000000004188: 8F3D9852
	s_and_b32 s82, s82, 0xffffff                               // 00000000418C: 8652FF52 00FFFFFF
	s_mul_i32 s82, s82, s71                                    // 000000004194: 92524752
	s_mul_i32 s61, s60, s61                                    // 000000004198: 923D3D3C
	s_add_u32 s82, s82, s61                                    // 00000000419C: 80523D52
	v_mul_lo_u32 v6, v5, s82                                   // 0000000041A0: D2850006 0000A505
	v_readlane_b32 s82, v3, 3                                  // 0000000041A8: D2890052 00010703
	s_lshr_b32 s61, s82, 24                                    // 0000000041B0: 8F3D9852
	s_and_b32 s82, s82, 0xffffff                               // 0000000041B4: 8652FF52 00FFFFFF
	s_mul_i32 s82, s82, s71                                    // 0000000041BC: 92524752
	s_mul_i32 s61, s60, s61                                    // 0000000041C0: 923D3D3C
	s_add_u32 s82, s82, s61                                    // 0000000041C4: 80523D52
	v_mul_lo_u32 v7, v4, s82                                   // 0000000041C8: D2850007 0000A504
	v_add_u32_e32 v37, v6, v7                                  // 0000000041D0: 684A0F06
	v_readlane_b32 s82, v3, 4                                  // 0000000041D4: D2890052 00010903
	s_lshr_b32 s61, s82, 24                                    // 0000000041DC: 8F3D9852
	s_and_b32 s82, s82, 0xffffff                               // 0000000041E0: 8652FF52 00FFFFFF
	s_mul_i32 s82, s82, s71                                    // 0000000041E8: 92524752
	s_mul_i32 s61, s60, s61                                    // 0000000041EC: 923D3D3C
	s_add_u32 s82, s82, s61                                    // 0000000041F0: 80523D52
	v_mul_lo_u32 v6, v5, s82                                   // 0000000041F4: D2850006 0000A505
	v_readlane_b32 s82, v3, 5                                  // 0000000041FC: D2890052 00010B03
	s_lshr_b32 s61, s82, 24                                    // 000000004204: 8F3D9852
	s_and_b32 s82, s82, 0xffffff                               // 000000004208: 8652FF52 00FFFFFF
	s_mul_i32 s82, s82, s71                                    // 000000004210: 92524752
	s_mul_i32 s61, s60, s61                                    // 000000004214: 923D3D3C
	s_add_u32 s82, s82, s61                                    // 000000004218: 80523D52
	v_mul_lo_u32 v7, v4, s82                                   // 00000000421C: D2850007 0000A504
	v_add_u32_e32 v38, v6, v7                                  // 000000004224: 684C0F06
	v_readlane_b32 s82, v3, 6                                  // 000000004228: D2890052 00010D03
	s_lshr_b32 s61, s82, 24                                    // 000000004230: 8F3D9852
	s_and_b32 s82, s82, 0xffffff                               // 000000004234: 8652FF52 00FFFFFF
	s_mul_i32 s82, s82, s71                                    // 00000000423C: 92524752
	s_mul_i32 s61, s60, s61                                    // 000000004240: 923D3D3C
	s_add_u32 s82, s82, s61                                    // 000000004244: 80523D52
	v_mul_lo_u32 v6, v5, s82                                   // 000000004248: D2850006 0000A505
	v_readlane_b32 s82, v3, 7                                  // 000000004250: D2890052 00010F03
	s_lshr_b32 s61, s82, 24                                    // 000000004258: 8F3D9852
	s_and_b32 s82, s82, 0xffffff                               // 00000000425C: 8652FF52 00FFFFFF
	s_mul_i32 s82, s82, s71                                    // 000000004264: 92524752
	s_mul_i32 s61, s60, s61                                    // 000000004268: 923D3D3C
	s_add_u32 s82, s82, s61                                    // 00000000426C: 80523D52
	v_mul_lo_u32 v7, v4, s82                                   // 000000004270: D2850007 0000A504
	v_add_u32_e32 v39, v6, v7                                  // 000000004278: 684E0F06
	v_and_b32_e32 v4, 31, v0                                   // 00000000427C: 2608009F
	v_lshrrev_b32_e32 v4, 1, v4                                // 000000004280: 20080881
	s_cmp_eq_u32 s88, 0                                        // 000000004284: BF068058
	s_cselect_b32 s61, 2, 4                                    // 000000004288: 853D8482
	v_mul_lo_u32 v4, v4, s61                                   // 00000000428C: D2850004 00007B04
	v_and_b32_e64 v5, v0, 1                                    // 000000004294: D1130005 00010300
	v_add_u32_e32 v4, v4, v5                                   // 00000000429C: 68080B04
	v_lshlrev_b32_e32 v4, 2, v4                                // 0000000042A0: 24080882
	v_add_u32_e32 v36, v36, v4                                 // 0000000042A4: 68480924
	v_add_u32_e32 v37, v37, v4                                 // 0000000042A8: 684A0925
	v_add_u32_e32 v38, v38, v4                                 // 0000000042AC: 684C0926
	v_add_u32_e32 v39, v39, v4                                 // 0000000042B0: 684E0927
	s_waitcnt lgkmcnt(0)                                       // 0000000042B4: BF8CC07F
	s_barrier                                                  // 0000000042B8: BF8A0000
	ds_read_b32 v44, v21                                       // 0000000042BC: D86C0000 2C000015
	ds_read_b32 v45, v21 offset:64                             // 0000000042C4: D86C0040 2D000015
	ds_read_b32 v48, v21 offset:2176                           // 0000000042CC: D86C0880 30000015
	ds_read_b32 v49, v21 offset:2240                           // 0000000042D4: D86C08C0 31000015
	ds_read_b32 v52, v21 offset:4352                           // 0000000042DC: D86C1100 34000015
	ds_read_b32 v53, v21 offset:4416                           // 0000000042E4: D86C1140 35000015
	ds_read_b32 v56, v21 offset:6528                           // 0000000042EC: D86C1980 38000015
	ds_read_b32 v57, v21 offset:6592                           // 0000000042F4: D86C19C0 39000015
	s_waitcnt lgkmcnt(0)                                       // 0000000042FC: BF8CC07F
	s_mov_b32 s36, -1                                          // 000000004300: BEA400C1
	s_mov_b32 s37, -1                                          // 000000004304: BEA500C1
	v_mov_b32_e32 v7, 0                                        // 000000004308: 7E0E0280
	s_mov_b64 exec, s[36:37]                                   // 00000000430C: BEFE0124
	v_mov_b32_e32 v6, v36                                      // 000000004310: 7E0C0324
	s_mov_b64 s[60:61], 0                                      // 000000004314: BEBC0180
	v_readlane_b32 s82, v3, 0                                  // 000000004318: D2890052 00010103
	s_and_b32 s82, s82, 0xffffff                               // 000000004320: 8652FF52 00FFFFFF
	s_cmp_lt_u32 s82, s66                                      // 000000004328: BF0A4252
	s_cselect_b32 s20, s36, s60                                // 00000000432C: 85143C24
	v_readlane_b32 s82, v3, 1                                  // 000000004330: D2890052 00010303
	s_and_b32 s82, s82, 0xffffff                               // 000000004338: 8652FF52 00FFFFFF
	s_cmp_lt_u32 s82, s66                                      // 000000004340: BF0A4252
	s_cselect_b32 s21, s36, s60                                // 000000004344: 85153C24
	s_mov_b64 exec, s[20:21]                                   // 000000004348: BEFE0114
	global_atomic_add_f32 v6, v44, s[8:9]                      // 00000000434C: DD348000 00082C06
	global_atomic_add_f32 v6, v48, s[8:9] offset:256           // 000000004354: DD348100 00083006
	s_mov_b64 exec, s[36:37]                                   // 00000000435C: BEFE0124
	v_mov_b32_e32 v6, v37                                      // 000000004360: 7E0C0325
	s_mov_b64 s[60:61], 0                                      // 000000004364: BEBC0180
	v_readlane_b32 s82, v3, 2                                  // 000000004368: D2890052 00010503
	s_and_b32 s82, s82, 0xffffff                               // 000000004370: 8652FF52 00FFFFFF
	s_cmp_lt_u32 s82, s66                                      // 000000004378: BF0A4252
	s_cselect_b32 s20, s36, s60                                // 00000000437C: 85143C24
	v_readlane_b32 s82, v3, 3                                  // 000000004380: D2890052 00010703
	s_and_b32 s82, s82, 0xffffff                               // 000000004388: 8652FF52 00FFFFFF
	s_cmp_lt_u32 s82, s66                                      // 000000004390: BF0A4252
	s_cselect_b32 s21, s36, s60                                // 000000004394: 85153C24
	s_mov_b64 exec, s[20:21]                                   // 000000004398: BEFE0114
	global_atomic_add_f32 v6, v45, s[8:9]                      // 00000000439C: DD348000 00082D06
	global_atomic_add_f32 v6, v49, s[8:9] offset:256           // 0000000043A4: DD348100 00083106
	s_mov_b64 exec, s[36:37]                                   // 0000000043AC: BEFE0124
	v_mov_b32_e32 v6, v38                                      // 0000000043B0: 7E0C0326
	s_mov_b64 s[60:61], 0                                      // 0000000043B4: BEBC0180
	v_readlane_b32 s82, v3, 4                                  // 0000000043B8: D2890052 00010903
	s_and_b32 s82, s82, 0xffffff                               // 0000000043C0: 8652FF52 00FFFFFF
	s_cmp_lt_u32 s82, s66                                      // 0000000043C8: BF0A4252
	s_cselect_b32 s20, s36, s60                                // 0000000043CC: 85143C24
	v_readlane_b32 s82, v3, 5                                  // 0000000043D0: D2890052 00010B03
	s_and_b32 s82, s82, 0xffffff                               // 0000000043D8: 8652FF52 00FFFFFF
	s_cmp_lt_u32 s82, s66                                      // 0000000043E0: BF0A4252
	s_cselect_b32 s21, s36, s60                                // 0000000043E4: 85153C24
	s_mov_b64 exec, s[20:21]                                   // 0000000043E8: BEFE0114
	global_atomic_add_f32 v6, v52, s[8:9]                      // 0000000043EC: DD348000 00083406
	global_atomic_add_f32 v6, v56, s[8:9] offset:256           // 0000000043F4: DD348100 00083806
	s_mov_b64 exec, s[36:37]                                   // 0000000043FC: BEFE0124
	v_mov_b32_e32 v6, v39                                      // 000000004400: 7E0C0327
	s_mov_b64 s[60:61], 0                                      // 000000004404: BEBC0180
	v_readlane_b32 s82, v3, 6                                  // 000000004408: D2890052 00010D03
	s_and_b32 s82, s82, 0xffffff                               // 000000004410: 8652FF52 00FFFFFF
	s_cmp_lt_u32 s82, s66                                      // 000000004418: BF0A4252
	s_cselect_b32 s20, s36, s60                                // 00000000441C: 85143C24
	v_readlane_b32 s82, v3, 7                                  // 000000004420: D2890052 00010F03
	s_and_b32 s82, s82, 0xffffff                               // 000000004428: 8652FF52 00FFFFFF
	s_cmp_lt_u32 s82, s66                                      // 000000004430: BF0A4252
	s_cselect_b32 s21, s36, s60                                // 000000004434: 85153C24
	s_mov_b64 exec, s[20:21]                                   // 000000004438: BEFE0114
	global_atomic_add_f32 v6, v53, s[8:9]                      // 00000000443C: DD348000 00083506
	global_atomic_add_f32 v6, v57, s[8:9] offset:256           // 000000004444: DD348100 00083906
	s_mov_b64 exec, s[36:37]                                   // 00000000444C: BEFE0124
	ds_write_b64 v20, v[46:47]                                 // 000000004450: D89A0000 00002E14
	ds_write_b64 v20, v[50:51] offset:4352                     // 000000004458: D89A1100 00003214
	ds_write_b64 v20, v[54:55] offset:2176                     // 000000004460: D89A0880 00003614
	ds_write_b64 v20, v[58:59] offset:6528                     // 000000004468: D89A1980 00003A14
	s_waitcnt lgkmcnt(0)                                       // 000000004470: BF8CC07F
	s_barrier                                                  // 000000004474: BF8A0000
	ds_read_b32 v46, v21                                       // 000000004478: D86C0000 2E000015
	ds_read_b32 v47, v21 offset:64                             // 000000004480: D86C0040 2F000015
	ds_read_b32 v50, v21 offset:2176                           // 000000004488: D86C0880 32000015
	ds_read_b32 v51, v21 offset:2240                           // 000000004490: D86C08C0 33000015
	ds_read_b32 v54, v21 offset:4352                           // 000000004498: D86C1100 36000015
	ds_read_b32 v55, v21 offset:4416                           // 0000000044A0: D86C1140 37000015
	ds_read_b32 v58, v21 offset:6528                           // 0000000044A8: D86C1980 3A000015
	ds_read_b32 v59, v21 offset:6592                           // 0000000044B0: D86C19C0 3B000015
	s_waitcnt lgkmcnt(0)                                       // 0000000044B8: BF8CC07F
	v_mov_b32_e32 v7, 0                                        // 0000000044BC: 7E0E0280
	s_mov_b64 exec, s[36:37]                                   // 0000000044C0: BEFE0124
	v_mov_b32_e32 v6, v36                                      // 0000000044C4: 7E0C0324
	s_mov_b64 s[60:61], 0                                      // 0000000044C8: BEBC0180
	v_readlane_b32 s82, v3, 0                                  // 0000000044CC: D2890052 00010103
	s_and_b32 s82, s82, 0xffffff                               // 0000000044D4: 8652FF52 00FFFFFF
	s_cmp_lt_u32 s82, s66                                      // 0000000044DC: BF0A4252
	s_cselect_b32 s20, s36, s60                                // 0000000044E0: 85143C24
	v_readlane_b32 s82, v3, 1                                  // 0000000044E4: D2890052 00010303
	s_and_b32 s82, s82, 0xffffff                               // 0000000044EC: 8652FF52 00FFFFFF
	s_cmp_lt_u32 s82, s66                                      // 0000000044F4: BF0A4252
	s_cselect_b32 s21, s36, s60                                // 0000000044F8: 85153C24
	s_mov_b64 exec, s[20:21]                                   // 0000000044FC: BEFE0114
	global_atomic_add_f32 v6, v46, s[8:9] offset:8             // 000000004500: DD348008 00082E06
	global_atomic_add_f32 v6, v50, s[8:9] offset:264           // 000000004508: DD348108 00083206
	s_mov_b64 exec, s[36:37]                                   // 000000004510: BEFE0124
	v_mov_b32_e32 v6, v37                                      // 000000004514: 7E0C0325
	s_mov_b64 s[60:61], 0                                      // 000000004518: BEBC0180
	v_readlane_b32 s82, v3, 2                                  // 00000000451C: D2890052 00010503
	s_and_b32 s82, s82, 0xffffff                               // 000000004524: 8652FF52 00FFFFFF
	s_cmp_lt_u32 s82, s66                                      // 00000000452C: BF0A4252
	s_cselect_b32 s20, s36, s60                                // 000000004530: 85143C24
	v_readlane_b32 s82, v3, 3                                  // 000000004534: D2890052 00010703
	s_and_b32 s82, s82, 0xffffff                               // 00000000453C: 8652FF52 00FFFFFF
	s_cmp_lt_u32 s82, s66                                      // 000000004544: BF0A4252
	s_cselect_b32 s21, s36, s60                                // 000000004548: 85153C24
	s_mov_b64 exec, s[20:21]                                   // 00000000454C: BEFE0114
	global_atomic_add_f32 v6, v47, s[8:9] offset:8             // 000000004550: DD348008 00082F06
	global_atomic_add_f32 v6, v51, s[8:9] offset:264           // 000000004558: DD348108 00083306
	s_mov_b64 exec, s[36:37]                                   // 000000004560: BEFE0124
	v_mov_b32_e32 v6, v38                                      // 000000004564: 7E0C0326
	s_mov_b64 s[60:61], 0                                      // 000000004568: BEBC0180
	v_readlane_b32 s82, v3, 4                                  // 00000000456C: D2890052 00010903
	s_and_b32 s82, s82, 0xffffff                               // 000000004574: 8652FF52 00FFFFFF
	s_cmp_lt_u32 s82, s66                                      // 00000000457C: BF0A4252
	s_cselect_b32 s20, s36, s60                                // 000000004580: 85143C24
	v_readlane_b32 s82, v3, 5                                  // 000000004584: D2890052 00010B03
	s_and_b32 s82, s82, 0xffffff                               // 00000000458C: 8652FF52 00FFFFFF
	s_cmp_lt_u32 s82, s66                                      // 000000004594: BF0A4252
	s_cselect_b32 s21, s36, s60                                // 000000004598: 85153C24
	s_mov_b64 exec, s[20:21]                                   // 00000000459C: BEFE0114
	global_atomic_add_f32 v6, v54, s[8:9] offset:8             // 0000000045A0: DD348008 00083606
	global_atomic_add_f32 v6, v58, s[8:9] offset:264           // 0000000045A8: DD348108 00083A06
	s_mov_b64 exec, s[36:37]                                   // 0000000045B0: BEFE0124
	v_mov_b32_e32 v6, v39                                      // 0000000045B4: 7E0C0327
	s_mov_b64 s[60:61], 0                                      // 0000000045B8: BEBC0180
	v_readlane_b32 s82, v3, 6                                  // 0000000045BC: D2890052 00010D03
	s_and_b32 s82, s82, 0xffffff                               // 0000000045C4: 8652FF52 00FFFFFF
	s_cmp_lt_u32 s82, s66                                      // 0000000045CC: BF0A4252
	s_cselect_b32 s20, s36, s60                                // 0000000045D0: 85143C24
	v_readlane_b32 s82, v3, 7                                  // 0000000045D4: D2890052 00010F03
	s_and_b32 s82, s82, 0xffffff                               // 0000000045DC: 8652FF52 00FFFFFF
	s_cmp_lt_u32 s82, s66                                      // 0000000045E4: BF0A4252
	s_cselect_b32 s21, s36, s60                                // 0000000045E8: 85153C24
	s_mov_b64 exec, s[20:21]                                   // 0000000045EC: BEFE0114
	global_atomic_add_f32 v6, v55, s[8:9] offset:8             // 0000000045F0: DD348008 00083706
	global_atomic_add_f32 v6, v59, s[8:9] offset:264           // 0000000045F8: DD348108 00083B06
	s_mov_b64 exec, s[36:37]                                   // 000000004600: BEFE0124
	ds_write_b64 v20, v[60:61]                                 // 000000004604: D89A0000 00003C14
	ds_write_b64 v20, v[64:65] offset:4352                     // 00000000460C: D89A1100 00004014
	ds_write_b64 v20, v[68:69] offset:2176                     // 000000004614: D89A0880 00004414
	ds_write_b64 v20, v[72:73] offset:6528                     // 00000000461C: D89A1980 00004814
	s_waitcnt lgkmcnt(0)                                       // 000000004624: BF8CC07F
	s_barrier                                                  // 000000004628: BF8A0000
	ds_read_b32 v60, v21                                       // 00000000462C: D86C0000 3C000015
	ds_read_b32 v61, v21 offset:64                             // 000000004634: D86C0040 3D000015
	ds_read_b32 v64, v21 offset:2176                           // 00000000463C: D86C0880 40000015
	ds_read_b32 v65, v21 offset:2240                           // 000000004644: D86C08C0 41000015
	ds_read_b32 v68, v21 offset:4352                           // 00000000464C: D86C1100 44000015
	ds_read_b32 v69, v21 offset:4416                           // 000000004654: D86C1140 45000015
	ds_read_b32 v72, v21 offset:6528                           // 00000000465C: D86C1980 48000015
	ds_read_b32 v73, v21 offset:6592                           // 000000004664: D86C19C0 49000015
	s_mul_i32 s60, s65, 4                                      // 00000000466C: 923C8441
	s_add_u32 s8, s60, s8                                      // 000000004670: 8008083C
	s_addc_u32 s9, 0, s9                                       // 000000004674: 82090980
	s_waitcnt lgkmcnt(0)                                       // 000000004678: BF8CC07F
	v_mov_b32_e32 v7, 0                                        // 00000000467C: 7E0E0280
	s_mov_b64 exec, s[36:37]                                   // 000000004680: BEFE0124
	v_mov_b32_e32 v6, v36                                      // 000000004684: 7E0C0324
	s_mov_b64 s[60:61], 0                                      // 000000004688: BEBC0180
	v_readlane_b32 s82, v3, 0                                  // 00000000468C: D2890052 00010103
	s_and_b32 s82, s82, 0xffffff                               // 000000004694: 8652FF52 00FFFFFF
	s_cmp_lt_u32 s82, s66                                      // 00000000469C: BF0A4252
	s_cselect_b32 s20, s36, s60                                // 0000000046A0: 85143C24
	v_readlane_b32 s82, v3, 1                                  // 0000000046A4: D2890052 00010303
	s_and_b32 s82, s82, 0xffffff                               // 0000000046AC: 8652FF52 00FFFFFF
	s_cmp_lt_u32 s82, s66                                      // 0000000046B4: BF0A4252
	s_cselect_b32 s21, s36, s60                                // 0000000046B8: 85153C24
	s_mov_b64 exec, s[20:21]                                   // 0000000046BC: BEFE0114
	global_atomic_add_f32 v6, v60, s[8:9]                      // 0000000046C0: DD348000 00083C06
	global_atomic_add_f32 v6, v64, s[8:9] offset:256           // 0000000046C8: DD348100 00084006
	s_mov_b64 exec, s[36:37]                                   // 0000000046D0: BEFE0124
	v_mov_b32_e32 v6, v37                                      // 0000000046D4: 7E0C0325
	s_mov_b64 s[60:61], 0                                      // 0000000046D8: BEBC0180
	v_readlane_b32 s82, v3, 2                                  // 0000000046DC: D2890052 00010503
	s_and_b32 s82, s82, 0xffffff                               // 0000000046E4: 8652FF52 00FFFFFF
	s_cmp_lt_u32 s82, s66                                      // 0000000046EC: BF0A4252
	s_cselect_b32 s20, s36, s60                                // 0000000046F0: 85143C24
	v_readlane_b32 s82, v3, 3                                  // 0000000046F4: D2890052 00010703
	s_and_b32 s82, s82, 0xffffff                               // 0000000046FC: 8652FF52 00FFFFFF
	s_cmp_lt_u32 s82, s66                                      // 000000004704: BF0A4252
	s_cselect_b32 s21, s36, s60                                // 000000004708: 85153C24
	s_mov_b64 exec, s[20:21]                                   // 00000000470C: BEFE0114
	global_atomic_add_f32 v6, v61, s[8:9]                      // 000000004710: DD348000 00083D06
	global_atomic_add_f32 v6, v65, s[8:9] offset:256           // 000000004718: DD348100 00084106
	s_mov_b64 exec, s[36:37]                                   // 000000004720: BEFE0124
	v_mov_b32_e32 v6, v38                                      // 000000004724: 7E0C0326
	s_mov_b64 s[60:61], 0                                      // 000000004728: BEBC0180
	v_readlane_b32 s82, v3, 4                                  // 00000000472C: D2890052 00010903
	s_and_b32 s82, s82, 0xffffff                               // 000000004734: 8652FF52 00FFFFFF
	s_cmp_lt_u32 s82, s66                                      // 00000000473C: BF0A4252
	s_cselect_b32 s20, s36, s60                                // 000000004740: 85143C24
	v_readlane_b32 s82, v3, 5                                  // 000000004744: D2890052 00010B03
	s_and_b32 s82, s82, 0xffffff                               // 00000000474C: 8652FF52 00FFFFFF
	s_cmp_lt_u32 s82, s66                                      // 000000004754: BF0A4252
	s_cselect_b32 s21, s36, s60                                // 000000004758: 85153C24
	s_mov_b64 exec, s[20:21]                                   // 00000000475C: BEFE0114
	global_atomic_add_f32 v6, v68, s[8:9]                      // 000000004760: DD348000 00084406
	global_atomic_add_f32 v6, v72, s[8:9] offset:256           // 000000004768: DD348100 00084806
	s_mov_b64 exec, s[36:37]                                   // 000000004770: BEFE0124
	v_mov_b32_e32 v6, v39                                      // 000000004774: 7E0C0327
	s_mov_b64 s[60:61], 0                                      // 000000004778: BEBC0180
	v_readlane_b32 s82, v3, 6                                  // 00000000477C: D2890052 00010D03
	s_and_b32 s82, s82, 0xffffff                               // 000000004784: 8652FF52 00FFFFFF
	s_cmp_lt_u32 s82, s66                                      // 00000000478C: BF0A4252
	s_cselect_b32 s20, s36, s60                                // 000000004790: 85143C24
	v_readlane_b32 s82, v3, 7                                  // 000000004794: D2890052 00010F03
	s_and_b32 s82, s82, 0xffffff                               // 00000000479C: 8652FF52 00FFFFFF
	s_cmp_lt_u32 s82, s66                                      // 0000000047A4: BF0A4252
	s_cselect_b32 s21, s36, s60                                // 0000000047A8: 85153C24
	s_mov_b64 exec, s[20:21]                                   // 0000000047AC: BEFE0114
	global_atomic_add_f32 v6, v69, s[8:9]                      // 0000000047B0: DD348000 00084506
	global_atomic_add_f32 v6, v73, s[8:9] offset:256           // 0000000047B8: DD348100 00084906
	s_mov_b64 exec, s[36:37]                                   // 0000000047C0: BEFE0124
	ds_write_b64 v20, v[62:63]                                 // 0000000047C4: D89A0000 00003E14
	ds_write_b64 v20, v[66:67] offset:4352                     // 0000000047CC: D89A1100 00004214
	ds_write_b64 v20, v[70:71] offset:2176                     // 0000000047D4: D89A0880 00004614
	ds_write_b64 v20, v[74:75] offset:6528                     // 0000000047DC: D89A1980 00004A14
	s_waitcnt lgkmcnt(0)                                       // 0000000047E4: BF8CC07F
	s_barrier                                                  // 0000000047E8: BF8A0000
	ds_read_b32 v62, v21                                       // 0000000047EC: D86C0000 3E000015
	ds_read_b32 v63, v21 offset:64                             // 0000000047F4: D86C0040 3F000015
	ds_read_b32 v66, v21 offset:2176                           // 0000000047FC: D86C0880 42000015
	ds_read_b32 v67, v21 offset:2240                           // 000000004804: D86C08C0 43000015
	ds_read_b32 v70, v21 offset:4352                           // 00000000480C: D86C1100 46000015
	ds_read_b32 v71, v21 offset:4416                           // 000000004814: D86C1140 47000015
	ds_read_b32 v74, v21 offset:6528                           // 00000000481C: D86C1980 4A000015
	ds_read_b32 v75, v21 offset:6592                           // 000000004824: D86C19C0 4B000015
	s_waitcnt lgkmcnt(0)                                       // 00000000482C: BF8CC07F
	v_mov_b32_e32 v7, 0                                        // 000000004830: 7E0E0280
	s_mov_b64 exec, s[36:37]                                   // 000000004834: BEFE0124
	v_mov_b32_e32 v6, v36                                      // 000000004838: 7E0C0324
	s_mov_b64 s[60:61], 0                                      // 00000000483C: BEBC0180
	v_readlane_b32 s82, v3, 0                                  // 000000004840: D2890052 00010103
	s_and_b32 s82, s82, 0xffffff                               // 000000004848: 8652FF52 00FFFFFF
	s_cmp_lt_u32 s82, s66                                      // 000000004850: BF0A4252
	s_cselect_b32 s20, s36, s60                                // 000000004854: 85143C24
	v_readlane_b32 s82, v3, 1                                  // 000000004858: D2890052 00010303
	s_and_b32 s82, s82, 0xffffff                               // 000000004860: 8652FF52 00FFFFFF
	s_cmp_lt_u32 s82, s66                                      // 000000004868: BF0A4252
	s_cselect_b32 s21, s36, s60                                // 00000000486C: 85153C24
	s_mov_b64 exec, s[20:21]                                   // 000000004870: BEFE0114
	global_atomic_add_f32 v6, v62, s[8:9] offset:8             // 000000004874: DD348008 00083E06
	global_atomic_add_f32 v6, v66, s[8:9] offset:264           // 00000000487C: DD348108 00084206
	s_mov_b64 exec, s[36:37]                                   // 000000004884: BEFE0124
	v_mov_b32_e32 v6, v37                                      // 000000004888: 7E0C0325
	s_mov_b64 s[60:61], 0                                      // 00000000488C: BEBC0180
	v_readlane_b32 s82, v3, 2                                  // 000000004890: D2890052 00010503
	s_and_b32 s82, s82, 0xffffff                               // 000000004898: 8652FF52 00FFFFFF
	s_cmp_lt_u32 s82, s66                                      // 0000000048A0: BF0A4252
	s_cselect_b32 s20, s36, s60                                // 0000000048A4: 85143C24
	v_readlane_b32 s82, v3, 3                                  // 0000000048A8: D2890052 00010703
	s_and_b32 s82, s82, 0xffffff                               // 0000000048B0: 8652FF52 00FFFFFF
	s_cmp_lt_u32 s82, s66                                      // 0000000048B8: BF0A4252
	s_cselect_b32 s21, s36, s60                                // 0000000048BC: 85153C24
	s_mov_b64 exec, s[20:21]                                   // 0000000048C0: BEFE0114
	global_atomic_add_f32 v6, v63, s[8:9] offset:8             // 0000000048C4: DD348008 00083F06
	global_atomic_add_f32 v6, v67, s[8:9] offset:264           // 0000000048CC: DD348108 00084306
	s_mov_b64 exec, s[36:37]                                   // 0000000048D4: BEFE0124
	v_mov_b32_e32 v6, v38                                      // 0000000048D8: 7E0C0326
	s_mov_b64 s[60:61], 0                                      // 0000000048DC: BEBC0180
	v_readlane_b32 s82, v3, 4                                  // 0000000048E0: D2890052 00010903
	s_and_b32 s82, s82, 0xffffff                               // 0000000048E8: 8652FF52 00FFFFFF
	s_cmp_lt_u32 s82, s66                                      // 0000000048F0: BF0A4252
	s_cselect_b32 s20, s36, s60                                // 0000000048F4: 85143C24
	v_readlane_b32 s82, v3, 5                                  // 0000000048F8: D2890052 00010B03
	s_and_b32 s82, s82, 0xffffff                               // 000000004900: 8652FF52 00FFFFFF
	s_cmp_lt_u32 s82, s66                                      // 000000004908: BF0A4252
	s_cselect_b32 s21, s36, s60                                // 00000000490C: 85153C24
	s_mov_b64 exec, s[20:21]                                   // 000000004910: BEFE0114
	global_atomic_add_f32 v6, v70, s[8:9] offset:8             // 000000004914: DD348008 00084606
	global_atomic_add_f32 v6, v74, s[8:9] offset:264           // 00000000491C: DD348108 00084A06
	s_mov_b64 exec, s[36:37]                                   // 000000004924: BEFE0124
	v_mov_b32_e32 v6, v39                                      // 000000004928: 7E0C0327
	s_mov_b64 s[60:61], 0                                      // 00000000492C: BEBC0180
	v_readlane_b32 s82, v3, 6                                  // 000000004930: D2890052 00010D03
	s_and_b32 s82, s82, 0xffffff                               // 000000004938: 8652FF52 00FFFFFF
	s_cmp_lt_u32 s82, s66                                      // 000000004940: BF0A4252
	s_cselect_b32 s20, s36, s60                                // 000000004944: 85143C24
	v_readlane_b32 s82, v3, 7                                  // 000000004948: D2890052 00010F03
	s_and_b32 s82, s82, 0xffffff                               // 000000004950: 8652FF52 00FFFFFF
	s_cmp_lt_u32 s82, s66                                      // 000000004958: BF0A4252
	s_cselect_b32 s21, s36, s60                                // 00000000495C: 85153C24
	s_mov_b64 exec, s[20:21]                                   // 000000004960: BEFE0114
	global_atomic_add_f32 v6, v71, s[8:9] offset:8             // 000000004964: DD348008 00084706
	global_atomic_add_f32 v6, v75, s[8:9] offset:264           // 00000000496C: DD348108 00084B06
	s_mov_b64 exec, s[36:37]                                   // 000000004974: BEFE0124
	s_branch label_0DFC                                        // 000000004978: BF82061A

000000000000497c <label_07E2>:
	s_waitcnt vmcnt(2) lgkmcnt(0)                              // 00000000497C: BF8C0072
	s_barrier                                                  // 000000004980: BF8A0000
	v_mfma_i32_16x16x32_i8 v[44:47], a[32:33], a[0:1], v[44:47]// 000000004984: D3D7002C 1CB20120
	buffer_load_dwordx4 a[48:51], v40, s[84:87], 0 offen       // 00000000498C: E05C1000 80953028
	v_mfma_i32_16x16x32_i8 v[44:47], a[34:35], a[2:3], v[44:47]// 000000004994: D3D7002C 1CB20522
	v_mfma_i32_16x16x32_i8 v[44:47], a[36:37], a[4:5], v[44:47]// 00000000499C: D3D7002C 1CB20924
	v_mfma_i32_16x16x32_i8 v[44:47], a[38:39], a[6:7], v[44:47]// 0000000049A4: D3D7002C 1CB20D26
	v_mfma_i32_16x16x32_i8 v[48:51], a[32:33], a[8:9], v[48:51]// 0000000049AC: D3D70030 1CC21120
	buffer_load_dwordx4 a[52:55], v40, s[84:87], 0 offen offset:1024// 0000000049B4: E05C1400 80953428
	v_mfma_i32_16x16x32_i8 v[48:51], a[34:35], a[10:11], v[48:51]// 0000000049BC: D3D70030 1CC21522
	v_mfma_i32_16x16x32_i8 v[48:51], a[36:37], a[12:13], v[48:51]// 0000000049C4: D3D70030 1CC21924
	v_mfma_i32_16x16x32_i8 v[48:51], a[38:39], a[14:15], v[48:51]// 0000000049CC: D3D70030 1CC21D26
	s_waitcnt vmcnt(2)                                         // 0000000049D4: BF8C0F72
	v_mfma_i32_16x16x32_i8 v[52:55], a[40:41], a[0:1], v[52:55]// 0000000049D8: D3D70034 1CD20128
	buffer_load_dwordx4 a[56:59], v41, s[84:87], 0 offen       // 0000000049E0: E05C1000 80953829
	v_mfma_i32_16x16x32_i8 v[52:55], a[42:43], a[2:3], v[52:55]// 0000000049E8: D3D70034 1CD2052A
	v_mfma_i32_16x16x32_i8 v[52:55], a[44:45], a[4:5], v[52:55]// 0000000049F0: D3D70034 1CD2092C
	v_mfma_i32_16x16x32_i8 v[52:55], a[46:47], a[6:7], v[52:55]// 0000000049F8: D3D70034 1CD20D2E
	v_mfma_i32_16x16x32_i8 v[56:59], a[40:41], a[8:9], v[56:59]// 000000004A00: D3D70038 1CE21128
	buffer_load_dwordx4 a[60:63], v41, s[84:87], 0 offen offset:1024// 000000004A08: E05C1400 80953C29
	buffer_load_dword v36, s[20:23], 0 offen lds               // 000000004A10: E0511000 80050024
	s_add_u32 m0, 0x100, s48                                   // 000000004A18: 807C30FF 00000100
	v_mfma_i32_16x16x32_i8 v[56:59], a[42:43], a[10:11], v[56:59]// 000000004A20: D3D70038 1CE2152A
	s_add_u32 s60, 0x80, s80                                   // 000000004A28: 803C50FF 00000080
	s_cmp_lt_u32 s60, s81                                      // 000000004A30: BF0A513C
	s_cselect_b32 s83, s83, 0                                  // 000000004A34: 85538053
	v_mfma_i32_16x16x32_i8 v[56:59], a[44:45], a[12:13], v[56:59]// 000000004A38: D3D70038 1CE2192C
	buffer_load_dword v37, s[20:23], 0 offen lds               // 000000004A40: E0511000 80050025
	s_add_u32 m0, 0x200, s48                                   // 000000004A48: 807C30FF 00000200
	v_mfma_i32_16x16x32_i8 v[56:59], a[46:47], a[14:15], v[56:59]// 000000004A50: D3D70038 1CE21D2E
	buffer_load_dword v38, s[20:23], 0 offen lds               // 000000004A58: E0511000 80050026
	s_add_u32 m0, 0x300, s48                                   // 000000004A60: 807C30FF 00000300
	buffer_load_dword v39, s[20:23], 0 offen lds               // 000000004A68: E0511000 80050027
	s_add_u32 m0, 0, s49                                       // 000000004A70: 807C3180
	s_waitcnt vmcnt(4)                                         // 000000004A74: BF8C0F74
	v_mfma_i32_16x16x32_i8 v[60:63], a[48:49], a[0:1], v[60:63]// 000000004A78: D3D7003C 1CF20130
	buffer_load_dwordx4 a[32:35], v40, s[24:27], 0 offen       // 000000004A80: E05C1000 80862028
	v_mfma_i32_16x16x32_i8 v[60:63], a[50:51], a[2:3], v[60:63]// 000000004A88: D3D7003C 1CF20532
	v_mfma_i32_16x16x32_i8 v[60:63], a[52:53], a[4:5], v[60:63]// 000000004A90: D3D7003C 1CF20934
	ds_read_b128 a[16:19], v2 offset:4224                      // 000000004A98: DBFE1080 10000002
	ds_read_b128 a[20:23], v2 offset:4288                      // 000000004AA0: DBFE10C0 14000002
	v_mfma_i32_16x16x32_i8 v[60:63], a[54:55], a[6:7], v[60:63]// 000000004AA8: D3D7003C 1CF20D36
	v_mfma_i32_16x16x32_i8 v[68:71], a[56:57], a[0:1], v[68:71]// 000000004AB0: D3D70044 1D120138
	buffer_load_dwordx4 a[36:39], v40, s[24:27], 0 offen offset:1024// 000000004AB8: E05C1400 80862428
	v_mfma_i32_16x16x32_i8 v[68:71], a[58:59], a[2:3], v[68:71]// 000000004AC0: D3D70044 1D12053A
	v_mfma_i32_16x16x32_i8 v[68:71], a[60:61], a[4:5], v[68:71]// 000000004AC8: D3D70044 1D12093C
	ds_read_b128 a[24:27], v2 offset:4736                      // 000000004AD0: DBFE1280 18000002
	ds_read_b128 a[28:31], v2 offset:4800                      // 000000004AD8: DBFE12C0 1C000002
	v_mfma_i32_16x16x32_i8 v[68:71], a[62:63], a[6:7], v[68:71]// 000000004AE0: D3D70044 1D120D3E
	v_mfma_i32_16x16x32_i8 v[64:67], a[48:49], a[8:9], v[64:67]// 000000004AE8: D3D70040 1D021130
	buffer_load_dwordx4 a[40:43], v41, s[24:27], 0 offen       // 000000004AF0: E05C1000 80862829
	v_mfma_i32_16x16x32_i8 v[64:67], a[50:51], a[10:11], v[64:67]// 000000004AF8: D3D70040 1D021532
	v_mfma_i32_16x16x32_i8 v[64:67], a[52:53], a[12:13], v[64:67]// 000000004B00: D3D70040 1D021934
	s_add_u32 s60, 0x180, s80                                  // 000000004B08: 803C50FF 00000180
	s_cmp_lt_u32 s60, s81                                      // 000000004B10: BF0A513C
	s_cselect_b32 s57, s57, 0                                  // 000000004B14: 85398039
	v_mfma_i32_16x16x32_i8 v[64:67], a[54:55], a[14:15], v[64:67]// 000000004B18: D3D70040 1D021D36
	s_add_u32 s60, 0x100, s80                                  // 000000004B20: 803C50FF 00000100
	s_cmp_lt_u32 s60, s81                                      // 000000004B28: BF0A513C
	s_cselect_b32 s58, s58, 0                                  // 000000004B2C: 853A803A
	v_mfma_i32_16x16x32_i8 v[72:75], a[56:57], a[8:9], v[72:75]// 000000004B30: D3D70048 1D221138
	buffer_load_dwordx4 a[44:47], v41, s[24:27], 0 offen offset:1024// 000000004B38: E05C1400 80862C29
	s_add_u32 s24, s58, s24                                    // 000000004B40: 8018183A
	s_addc_u32 s25, 0, s25                                     // 000000004B44: 82191980
	v_mfma_i32_16x16x32_i8 v[72:75], a[58:59], a[10:11], v[72:75]// 000000004B48: D3D70048 1D22153A
	s_add_u32 s20, s57, s20                                    // 000000004B50: 80141439
	s_addc_u32 s21, 0, s21                                     // 000000004B54: 82151580
	v_mfma_i32_16x16x32_i8 v[72:75], a[60:61], a[12:13], v[72:75]// 000000004B58: D3D70048 1D22193C
	s_add_u32 s84, s83, s84                                    // 000000004B60: 80545453
	s_addc_u32 s85, 0, s85                                     // 000000004B64: 82555580
	v_mfma_i32_16x16x32_i8 v[72:75], a[62:63], a[14:15], v[72:75]// 000000004B68: D3D70048 1D221D3E
	s_addk_i32 s80, 0x80                                       // 000000004B70: B7500080
	s_cmp_lt_i32 s80, s81                                      // 000000004B74: BF045150
	s_cbranch_scc0 label_08E3                                  // 000000004B78: BF840081
	s_waitcnt vmcnt(2) lgkmcnt(0)                              // 000000004B7C: BF8C0072
	s_barrier                                                  // 000000004B80: BF8A0000
	v_mfma_i32_16x16x32_i8 v[44:47], a[32:33], a[16:17], v[44:47]// 000000004B84: D3D7002C 1CB22120
	buffer_load_dwordx4 a[48:51], v40, s[84:87], 0 offen       // 000000004B8C: E05C1000 80953028
	v_mfma_i32_16x16x32_i8 v[44:47], a[34:35], a[18:19], v[44:47]// 000000004B94: D3D7002C 1CB22522
	v_mfma_i32_16x16x32_i8 v[44:47], a[36:37], a[20:21], v[44:47]// 000000004B9C: D3D7002C 1CB22924
	v_mfma_i32_16x16x32_i8 v[44:47], a[38:39], a[22:23], v[44:47]// 000000004BA4: D3D7002C 1CB22D26
	v_mfma_i32_16x16x32_i8 v[48:51], a[32:33], a[24:25], v[48:51]// 000000004BAC: D3D70030 1CC23120
	buffer_load_dwordx4 a[52:55], v40, s[84:87], 0 offen offset:1024// 000000004BB4: E05C1400 80953428
	v_mfma_i32_16x16x32_i8 v[48:51], a[34:35], a[26:27], v[48:51]// 000000004BBC: D3D70030 1CC23522
	v_mfma_i32_16x16x32_i8 v[48:51], a[36:37], a[28:29], v[48:51]// 000000004BC4: D3D70030 1CC23924
	v_mfma_i32_16x16x32_i8 v[48:51], a[38:39], a[30:31], v[48:51]// 000000004BCC: D3D70030 1CC23D26
	s_waitcnt vmcnt(2)                                         // 000000004BD4: BF8C0F72
	v_mfma_i32_16x16x32_i8 v[52:55], a[40:41], a[16:17], v[52:55]// 000000004BD8: D3D70034 1CD22128
	buffer_load_dwordx4 a[56:59], v41, s[84:87], 0 offen       // 000000004BE0: E05C1000 80953829
	v_mfma_i32_16x16x32_i8 v[52:55], a[42:43], a[18:19], v[52:55]// 000000004BE8: D3D70034 1CD2252A
	v_mfma_i32_16x16x32_i8 v[52:55], a[44:45], a[20:21], v[52:55]// 000000004BF0: D3D70034 1CD2292C
	v_mfma_i32_16x16x32_i8 v[52:55], a[46:47], a[22:23], v[52:55]// 000000004BF8: D3D70034 1CD22D2E
	v_mfma_i32_16x16x32_i8 v[56:59], a[40:41], a[24:25], v[56:59]// 000000004C00: D3D70038 1CE23128
	buffer_load_dwordx4 a[60:63], v41, s[84:87], 0 offen offset:1024// 000000004C08: E05C1400 80953C29
	buffer_load_dword v36, s[20:23], 0 offen lds               // 000000004C10: E0511000 80050024
	s_add_u32 m0, 0x100, s49                                   // 000000004C18: 807C31FF 00000100
	v_mfma_i32_16x16x32_i8 v[56:59], a[42:43], a[26:27], v[56:59]// 000000004C20: D3D70038 1CE2352A
	s_add_u32 s60, 0x80, s80                                   // 000000004C28: 803C50FF 00000080
	s_cmp_lt_u32 s60, s81                                      // 000000004C30: BF0A513C
	s_cselect_b32 s83, s83, 0                                  // 000000004C34: 85538053
	v_mfma_i32_16x16x32_i8 v[56:59], a[44:45], a[28:29], v[56:59]// 000000004C38: D3D70038 1CE2392C
	buffer_load_dword v37, s[20:23], 0 offen lds               // 000000004C40: E0511000 80050025
	s_add_u32 m0, 0x200, s49                                   // 000000004C48: 807C31FF 00000200
	v_mfma_i32_16x16x32_i8 v[56:59], a[46:47], a[30:31], v[56:59]// 000000004C50: D3D70038 1CE23D2E
	buffer_load_dword v38, s[20:23], 0 offen lds               // 000000004C58: E0511000 80050026
	s_add_u32 m0, 0x300, s49                                   // 000000004C60: 807C31FF 00000300
	buffer_load_dword v39, s[20:23], 0 offen lds               // 000000004C68: E0511000 80050027
	s_add_u32 m0, 0, s48                                       // 000000004C70: 807C3080
	s_waitcnt vmcnt(4)                                         // 000000004C74: BF8C0F74
	v_mfma_i32_16x16x32_i8 v[60:63], a[48:49], a[16:17], v[60:63]// 000000004C78: D3D7003C 1CF22130
	buffer_load_dwordx4 a[32:35], v40, s[24:27], 0 offen       // 000000004C80: E05C1000 80862028
	v_mfma_i32_16x16x32_i8 v[60:63], a[50:51], a[18:19], v[60:63]// 000000004C88: D3D7003C 1CF22532
	v_mfma_i32_16x16x32_i8 v[60:63], a[52:53], a[20:21], v[60:63]// 000000004C90: D3D7003C 1CF22934
	ds_read_b128 a[0:3], v2                                    // 000000004C98: DBFE0000 00000002
	ds_read_b128 a[4:7], v2 offset:64                          // 000000004CA0: DBFE0040 04000002
	v_mfma_i32_16x16x32_i8 v[60:63], a[54:55], a[22:23], v[60:63]// 000000004CA8: D3D7003C 1CF22D36
	v_mfma_i32_16x16x32_i8 v[68:71], a[56:57], a[16:17], v[68:71]// 000000004CB0: D3D70044 1D122138
	buffer_load_dwordx4 a[36:39], v40, s[24:27], 0 offen offset:1024// 000000004CB8: E05C1400 80862428
	v_mfma_i32_16x16x32_i8 v[68:71], a[58:59], a[18:19], v[68:71]// 000000004CC0: D3D70044 1D12253A
	v_mfma_i32_16x16x32_i8 v[68:71], a[60:61], a[20:21], v[68:71]// 000000004CC8: D3D70044 1D12293C
	ds_read_b128 a[8:11], v2 offset:512                        // 000000004CD0: DBFE0200 08000002
	ds_read_b128 a[12:15], v2 offset:576                       // 000000004CD8: DBFE0240 0C000002
	v_mfma_i32_16x16x32_i8 v[68:71], a[62:63], a[22:23], v[68:71]// 000000004CE0: D3D70044 1D122D3E
	v_mfma_i32_16x16x32_i8 v[64:67], a[48:49], a[24:25], v[64:67]// 000000004CE8: D3D70040 1D023130
	buffer_load_dwordx4 a[40:43], v41, s[24:27], 0 offen       // 000000004CF0: E05C1000 80862829
	v_mfma_i32_16x16x32_i8 v[64:67], a[50:51], a[26:27], v[64:67]// 000000004CF8: D3D70040 1D023532
	v_mfma_i32_16x16x32_i8 v[64:67], a[52:53], a[28:29], v[64:67]// 000000004D00: D3D70040 1D023934
	s_add_u32 s60, 0x180, s80                                  // 000000004D08: 803C50FF 00000180
	s_cmp_lt_u32 s60, s81                                      // 000000004D10: BF0A513C
	s_cselect_b32 s57, s57, 0                                  // 000000004D14: 85398039
	v_mfma_i32_16x16x32_i8 v[64:67], a[54:55], a[30:31], v[64:67]// 000000004D18: D3D70040 1D023D36
	s_add_u32 s60, 0x100, s80                                  // 000000004D20: 803C50FF 00000100
	s_cmp_lt_u32 s60, s81                                      // 000000004D28: BF0A513C
	s_cselect_b32 s58, s58, 0                                  // 000000004D2C: 853A803A
	v_mfma_i32_16x16x32_i8 v[72:75], a[56:57], a[24:25], v[72:75]// 000000004D30: D3D70048 1D223138
	buffer_load_dwordx4 a[44:47], v41, s[24:27], 0 offen offset:1024// 000000004D38: E05C1400 80862C29
	s_add_u32 s24, s58, s24                                    // 000000004D40: 8018183A
	s_addc_u32 s25, 0, s25                                     // 000000004D44: 82191980
	v_mfma_i32_16x16x32_i8 v[72:75], a[58:59], a[26:27], v[72:75]// 000000004D48: D3D70048 1D22353A
	s_add_u32 s20, s57, s20                                    // 000000004D50: 80141439
	s_addc_u32 s21, 0, s21                                     // 000000004D54: 82151580
	v_mfma_i32_16x16x32_i8 v[72:75], a[60:61], a[28:29], v[72:75]// 000000004D58: D3D70048 1D22393C
	s_add_u32 s84, s83, s84                                    // 000000004D60: 80545453
	s_addc_u32 s85, 0, s85                                     // 000000004D64: 82555580
	v_mfma_i32_16x16x32_i8 v[72:75], a[62:63], a[30:31], v[72:75]// 000000004D68: D3D70048 1D223D3E
	s_addk_i32 s80, 0x80                                       // 000000004D70: B7500080
	s_cmp_lt_i32 s80, s81                                      // 000000004D74: BF045150
	s_cbranch_scc0 label_08E3                                  // 000000004D78: BF840001
	s_branch label_07E2                                        // 000000004D7C: BF82FEFF

0000000000004d80 <label_08E3>:
	v_cvt_f32_i32_e32 v44, v44                                 // 000000004D80: 7E580B2C
	v_cvt_f32_i32_e32 v45, v45                                 // 000000004D84: 7E5A0B2D
	v_cvt_f32_i32_e32 v46, v46                                 // 000000004D88: 7E5C0B2E
	v_cvt_f32_i32_e32 v47, v47                                 // 000000004D8C: 7E5E0B2F
	v_mul_f32_dpp v44, v24, v44 row_newbcast:0 row_mask:0xf bank_mask:0xf// 000000004D90: 0A5858FA FF015018
	v_mul_f32_dpp v45, v24, v45 row_newbcast:1 row_mask:0xf bank_mask:0xf// 000000004D98: 0A5A5AFA FF015118
	v_mul_f32_dpp v46, v24, v46 row_newbcast:2 row_mask:0xf bank_mask:0xf// 000000004DA0: 0A5C5CFA FF015218
	v_mul_f32_dpp v47, v24, v47 row_newbcast:3 row_mask:0xf bank_mask:0xf// 000000004DA8: 0A5E5EFA FF015318
	v_cvt_f32_i32_e32 v48, v48                                 // 000000004DB0: 7E600B30
	v_cvt_f32_i32_e32 v49, v49                                 // 000000004DB4: 7E620B31
	v_cvt_f32_i32_e32 v50, v50                                 // 000000004DB8: 7E640B32
	v_cvt_f32_i32_e32 v51, v51                                 // 000000004DBC: 7E660B33
	v_mul_f32_dpp v48, v24, v48 row_newbcast:0 row_mask:0xf bank_mask:0xf// 000000004DC0: 0A6060FA FF015018
	v_mul_f32_dpp v49, v24, v49 row_newbcast:1 row_mask:0xf bank_mask:0xf// 000000004DC8: 0A6262FA FF015118
	v_mul_f32_dpp v50, v24, v50 row_newbcast:2 row_mask:0xf bank_mask:0xf// 000000004DD0: 0A6464FA FF015218
	v_mul_f32_dpp v51, v24, v51 row_newbcast:3 row_mask:0xf bank_mask:0xf// 000000004DD8: 0A6666FA FF015318
	v_cvt_f32_i32_e32 v52, v52                                 // 000000004DE0: 7E680B34
	v_cvt_f32_i32_e32 v53, v53                                 // 000000004DE4: 7E6A0B35
	v_cvt_f32_i32_e32 v54, v54                                 // 000000004DE8: 7E6C0B36
	v_cvt_f32_i32_e32 v55, v55                                 // 000000004DEC: 7E6E0B37
	v_mul_f32_dpp v52, v24, v52 row_newbcast:4 row_mask:0xf bank_mask:0xf// 000000004DF0: 0A6868FA FF015418
	v_mul_f32_dpp v53, v24, v53 row_newbcast:5 row_mask:0xf bank_mask:0xf// 000000004DF8: 0A6A6AFA FF015518
	v_mul_f32_dpp v54, v24, v54 row_newbcast:6 row_mask:0xf bank_mask:0xf// 000000004E00: 0A6C6CFA FF015618
	v_mul_f32_dpp v55, v24, v55 row_newbcast:7 row_mask:0xf bank_mask:0xf// 000000004E08: 0A6E6EFA FF015718
	v_cvt_f32_i32_e32 v56, v56                                 // 000000004E10: 7E700B38
	v_cvt_f32_i32_e32 v57, v57                                 // 000000004E14: 7E720B39
	v_cvt_f32_i32_e32 v58, v58                                 // 000000004E18: 7E740B3A
	v_cvt_f32_i32_e32 v59, v59                                 // 000000004E1C: 7E760B3B
	v_mul_f32_dpp v56, v24, v56 row_newbcast:4 row_mask:0xf bank_mask:0xf// 000000004E20: 0A7070FA FF015418
	v_mul_f32_dpp v57, v24, v57 row_newbcast:5 row_mask:0xf bank_mask:0xf// 000000004E28: 0A7272FA FF015518
	v_mul_f32_dpp v58, v24, v58 row_newbcast:6 row_mask:0xf bank_mask:0xf// 000000004E30: 0A7474FA FF015618
	v_mul_f32_dpp v59, v24, v59 row_newbcast:7 row_mask:0xf bank_mask:0xf// 000000004E38: 0A7676FA FF015718
	v_cvt_f32_i32_e32 v60, v60                                 // 000000004E40: 7E780B3C
	v_cvt_f32_i32_e32 v61, v61                                 // 000000004E44: 7E7A0B3D
	v_cvt_f32_i32_e32 v62, v62                                 // 000000004E48: 7E7C0B3E
	v_cvt_f32_i32_e32 v63, v63                                 // 000000004E4C: 7E7E0B3F
	v_mul_f32_dpp v60, v26, v60 row_newbcast:0 row_mask:0xf bank_mask:0xf// 000000004E50: 0A7878FA FF01501A
	v_mul_f32_dpp v61, v26, v61 row_newbcast:1 row_mask:0xf bank_mask:0xf// 000000004E58: 0A7A7AFA FF01511A
	v_mul_f32_dpp v62, v26, v62 row_newbcast:2 row_mask:0xf bank_mask:0xf// 000000004E60: 0A7C7CFA FF01521A
	v_mul_f32_dpp v63, v26, v63 row_newbcast:3 row_mask:0xf bank_mask:0xf// 000000004E68: 0A7E7EFA FF01531A
	v_cvt_f32_i32_e32 v64, v64                                 // 000000004E70: 7E800B40
	v_cvt_f32_i32_e32 v65, v65                                 // 000000004E74: 7E820B41
	v_cvt_f32_i32_e32 v66, v66                                 // 000000004E78: 7E840B42
	v_cvt_f32_i32_e32 v67, v67                                 // 000000004E7C: 7E860B43
	v_mul_f32_dpp v64, v26, v64 row_newbcast:0 row_mask:0xf bank_mask:0xf// 000000004E80: 0A8080FA FF01501A
	v_mul_f32_dpp v65, v26, v65 row_newbcast:1 row_mask:0xf bank_mask:0xf// 000000004E88: 0A8282FA FF01511A
	v_mul_f32_dpp v66, v26, v66 row_newbcast:2 row_mask:0xf bank_mask:0xf// 000000004E90: 0A8484FA FF01521A
	v_mul_f32_dpp v67, v26, v67 row_newbcast:3 row_mask:0xf bank_mask:0xf// 000000004E98: 0A8686FA FF01531A
	v_cvt_f32_i32_e32 v68, v68                                 // 000000004EA0: 7E880B44
	v_cvt_f32_i32_e32 v69, v69                                 // 000000004EA4: 7E8A0B45
	v_cvt_f32_i32_e32 v70, v70                                 // 000000004EA8: 7E8C0B46
	v_cvt_f32_i32_e32 v71, v71                                 // 000000004EAC: 7E8E0B47
	v_mul_f32_dpp v68, v26, v68 row_newbcast:4 row_mask:0xf bank_mask:0xf// 000000004EB0: 0A8888FA FF01541A
	v_mul_f32_dpp v69, v26, v69 row_newbcast:5 row_mask:0xf bank_mask:0xf// 000000004EB8: 0A8A8AFA FF01551A
	v_mul_f32_dpp v70, v26, v70 row_newbcast:6 row_mask:0xf bank_mask:0xf// 000000004EC0: 0A8C8CFA FF01561A
	v_mul_f32_dpp v71, v26, v71 row_newbcast:7 row_mask:0xf bank_mask:0xf// 000000004EC8: 0A8E8EFA FF01571A
	v_cvt_f32_i32_e32 v72, v72                                 // 000000004ED0: 7E900B48
	v_cvt_f32_i32_e32 v73, v73                                 // 000000004ED4: 7E920B49
	v_cvt_f32_i32_e32 v74, v74                                 // 000000004ED8: 7E940B4A
	v_cvt_f32_i32_e32 v75, v75                                 // 000000004EDC: 7E960B4B
	v_mul_f32_dpp v72, v26, v72 row_newbcast:4 row_mask:0xf bank_mask:0xf// 000000004EE0: 0A9090FA FF01541A
	v_mul_f32_dpp v73, v26, v73 row_newbcast:5 row_mask:0xf bank_mask:0xf// 000000004EE8: 0A9292FA FF01551A
	v_mul_f32_dpp v74, v26, v74 row_newbcast:6 row_mask:0xf bank_mask:0xf// 000000004EF0: 0A9494FA FF01561A
	v_mul_f32_dpp v75, v26, v75 row_newbcast:7 row_mask:0xf bank_mask:0xf// 000000004EF8: 0A9696FA FF01571A
	v_mov_b32_e32 v4, v30                                      // 000000004F00: 7E08031E
	v_mov_b32_e32 v5, v4                                       // 000000004F04: 7E0A0304
	v_pk_mul_f32 v[44:45], v[4:5], v[44:45]                    // 000000004F08: D3B1402C 18025904
	v_pk_mul_f32 v[60:61], v[4:5], v[60:61]                    // 000000004F10: D3B1403C 18027904
	v_pk_mul_f32 v[46:47], v[4:5], v[46:47]                    // 000000004F18: D3B1402E 18025D04
	v_pk_mul_f32 v[62:63], v[4:5], v[62:63]                    // 000000004F20: D3B1403E 18027D04
	v_pk_mul_f32 v[52:53], v[4:5], v[52:53]                    // 000000004F28: D3B14034 18026904
	v_pk_mul_f32 v[68:69], v[4:5], v[68:69]                    // 000000004F30: D3B14044 18028904
	v_pk_mul_f32 v[54:55], v[4:5], v[54:55]                    // 000000004F38: D3B14036 18026D04
	v_pk_mul_f32 v[70:71], v[4:5], v[70:71]                    // 000000004F40: D3B14046 18028D04
	v_mov_b32_e32 v4, v31                                      // 000000004F48: 7E08031F
	v_mov_b32_e32 v5, v4                                       // 000000004F4C: 7E0A0304
	v_pk_mul_f32 v[48:49], v[4:5], v[48:49]                    // 000000004F50: D3B14030 18026104
	v_pk_mul_f32 v[64:65], v[4:5], v[64:65]                    // 000000004F58: D3B14040 18028104
	v_pk_mul_f32 v[50:51], v[4:5], v[50:51]                    // 000000004F60: D3B14032 18026504
	v_pk_mul_f32 v[66:67], v[4:5], v[66:67]                    // 000000004F68: D3B14042 18028504
	v_pk_mul_f32 v[56:57], v[4:5], v[56:57]                    // 000000004F70: D3B14038 18027104
	v_pk_mul_f32 v[72:73], v[4:5], v[72:73]                    // 000000004F78: D3B14048 18029104
	v_pk_mul_f32 v[58:59], v[4:5], v[58:59]                    // 000000004F80: D3B1403A 18027504
	v_pk_mul_f32 v[74:75], v[4:5], v[74:75]                    // 000000004F88: D3B1404A 18029504
	s_cmp_eq_u32 s88, 0                                        // 000000004F90: BF068058
	s_cbranch_scc0 label_0BDA                                  // 000000004F94: BF840271
	s_cmp_eq_u32 s89, 0                                        // 000000004F98: BF068059
	s_cbranch_scc1 label_0A10                                  // 000000004F9C: BF8500A5
	v_mov_b32_e32 v8, v1                                       // 000000004FA0: 7E100301
	v_mov_b32_e32 v9, v1                                       // 000000004FA4: 7E120301
	s_mov_b32 s60, s6                                          // 000000004FA8: BEBC0006
	s_mov_b32 s61, s6                                          // 000000004FAC: BEBD0006
	v_pk_mul_f32 v[4:5], v[44:45], v[44:45]                    // 000000004FB0: D3B14004 1802592C
	v_pk_mul_f32 v[6:7], v[46:47], v[46:47]                    // 000000004FB8: D3B14006 18025D2E
	v_pk_fma_f32 v[4:5], v[4:5], s[78:79], v[8:9]              // 000000004FC0: D3B04004 1C209D04
	v_pk_fma_f32 v[6:7], v[6:7], s[78:79], v[8:9]              // 000000004FC8: D3B04006 1C209D06
	v_pk_mul_f32 v[4:5], v[4:5], v[44:45]                      // 000000004FD0: D3B14004 18025904
	v_pk_mul_f32 v[6:7], v[6:7], v[46:47]                      // 000000004FD8: D3B14006 18025D06
	v_pk_mul_f32 v[4:5], v[4:5], s[60:61]                      // 000000004FE0: D3B14004 18007904
	v_pk_mul_f32 v[6:7], v[6:7], s[60:61]                      // 000000004FE8: D3B14006 18007906
	v_exp_f32_e32 v4, v4                                       // 000000004FF0: 7E084104
	v_exp_f32_e32 v5, v5                                       // 000000004FF4: 7E0A4105
	v_exp_f32_e32 v6, v6                                       // 000000004FF8: 7E0C4106
	v_exp_f32_e32 v7, v7                                       // 000000004FFC: 7E0E4107
	v_add_f32_e64 v4, v4, 1.0                                  // 000000005000: D1010004 0001E504
	v_add_f32_e64 v5, v5, 1.0                                  // 000000005008: D1010005 0001E505
	v_add_f32_e64 v6, v6, 1.0                                  // 000000005010: D1010006 0001E506
	v_add_f32_e64 v7, v7, 1.0                                  // 000000005018: D1010007 0001E507
	v_rcp_f32_e32 v4, v4                                       // 000000005020: 7E084504
	v_rcp_f32_e32 v5, v5                                       // 000000005024: 7E0A4505
	v_rcp_f32_e32 v6, v6                                       // 000000005028: 7E0C4506
	v_rcp_f32_e32 v7, v7                                       // 00000000502C: 7E0E4507
	v_mul_f32_e32 v44, v44, v4                                 // 000000005030: 0A58092C
	v_mul_f32_e32 v45, v45, v5                                 // 000000005034: 0A5A0B2D
	v_mul_f32_e32 v46, v46, v6                                 // 000000005038: 0A5C0D2E
	v_mul_f32_e32 v47, v47, v7                                 // 00000000503C: 0A5E0F2F
	v_mul_f32_e32 v44, v44, v60                                // 000000005040: 0A58792C
	v_mul_f32_e32 v45, v45, v61                                // 000000005044: 0A5A7B2D
	v_mul_f32_e32 v46, v46, v62                                // 000000005048: 0A5C7D2E
	v_mul_f32_e32 v47, v47, v63                                // 00000000504C: 0A5E7F2F
	v_pk_mul_f32 v[4:5], v[48:49], v[48:49]                    // 000000005050: D3B14004 18026130
	v_pk_mul_f32 v[6:7], v[50:51], v[50:51]                    // 000000005058: D3B14006 18026532
	v_pk_fma_f32 v[4:5], v[4:5], s[78:79], v[8:9]              // 000000005060: D3B04004 1C209D04
	v_pk_fma_f32 v[6:7], v[6:7], s[78:79], v[8:9]              // 000000005068: D3B04006 1C209D06
	v_pk_mul_f32 v[4:5], v[4:5], v[48:49]                      // 000000005070: D3B14004 18026104
	v_pk_mul_f32 v[6:7], v[6:7], v[50:51]                      // 000000005078: D3B14006 18026506
	v_pk_mul_f32 v[4:5], v[4:5], s[60:61]                      // 000000005080: D3B14004 18007904
	v_pk_mul_f32 v[6:7], v[6:7], s[60:61]                      // 000000005088: D3B14006 18007906
	v_exp_f32_e32 v4, v4                                       // 000000005090: 7E084104
	v_exp_f32_e32 v5, v5                                       // 000000005094: 7E0A4105
	v_exp_f32_e32 v6, v6                                       // 000000005098: 7E0C4106
	v_exp_f32_e32 v7, v7                                       // 00000000509C: 7E0E4107
	v_add_f32_e64 v4, v4, 1.0                                  // 0000000050A0: D1010004 0001E504
	v_add_f32_e64 v5, v5, 1.0                                  // 0000000050A8: D1010005 0001E505
	v_add_f32_e64 v6, v6, 1.0                                  // 0000000050B0: D1010006 0001E506
	v_add_f32_e64 v7, v7, 1.0                                  // 0000000050B8: D1010007 0001E507
	v_rcp_f32_e32 v4, v4                                       // 0000000050C0: 7E084504
	v_rcp_f32_e32 v5, v5                                       // 0000000050C4: 7E0A4505
	v_rcp_f32_e32 v6, v6                                       // 0000000050C8: 7E0C4506
	v_rcp_f32_e32 v7, v7                                       // 0000000050CC: 7E0E4507
	v_mul_f32_e32 v48, v48, v4                                 // 0000000050D0: 0A600930
	v_mul_f32_e32 v49, v49, v5                                 // 0000000050D4: 0A620B31
	v_mul_f32_e32 v50, v50, v6                                 // 0000000050D8: 0A640D32
	v_mul_f32_e32 v51, v51, v7                                 // 0000000050DC: 0A660F33
	v_mul_f32_e32 v48, v48, v64                                // 0000000050E0: 0A608130
	v_mul_f32_e32 v49, v49, v65                                // 0000000050E4: 0A628331
	v_mul_f32_e32 v50, v50, v66                                // 0000000050E8: 0A648532
	v_mul_f32_e32 v51, v51, v67                                // 0000000050EC: 0A668733
	v_pk_mul_f32 v[4:5], v[52:53], v[52:53]                    // 0000000050F0: D3B14004 18026934
	v_pk_mul_f32 v[6:7], v[54:55], v[54:55]                    // 0000000050F8: D3B14006 18026D36
	v_pk_fma_f32 v[4:5], v[4:5], s[78:79], v[8:9]              // 000000005100: D3B04004 1C209D04
	v_pk_fma_f32 v[6:7], v[6:7], s[78:79], v[8:9]              // 000000005108: D3B04006 1C209D06
	v_pk_mul_f32 v[4:5], v[4:5], v[52:53]                      // 000000005110: D3B14004 18026904
	v_pk_mul_f32 v[6:7], v[6:7], v[54:55]                      // 000000005118: D3B14006 18026D06
	v_pk_mul_f32 v[4:5], v[4:5], s[60:61]                      // 000000005120: D3B14004 18007904
	v_pk_mul_f32 v[6:7], v[6:7], s[60:61]                      // 000000005128: D3B14006 18007906
	v_exp_f32_e32 v4, v4                                       // 000000005130: 7E084104
	v_exp_f32_e32 v5, v5                                       // 000000005134: 7E0A4105
	v_exp_f32_e32 v6, v6                                       // 000000005138: 7E0C4106
	v_exp_f32_e32 v7, v7                                       // 00000000513C: 7E0E4107
	v_add_f32_e64 v4, v4, 1.0                                  // 000000005140: D1010004 0001E504
	v_add_f32_e64 v5, v5, 1.0                                  // 000000005148: D1010005 0001E505
	v_add_f32_e64 v6, v6, 1.0                                  // 000000005150: D1010006 0001E506
	v_add_f32_e64 v7, v7, 1.0                                  // 000000005158: D1010007 0001E507
	v_rcp_f32_e32 v4, v4                                       // 000000005160: 7E084504
	v_rcp_f32_e32 v5, v5                                       // 000000005164: 7E0A4505
	v_rcp_f32_e32 v6, v6                                       // 000000005168: 7E0C4506
	v_rcp_f32_e32 v7, v7                                       // 00000000516C: 7E0E4507
	v_mul_f32_e32 v52, v52, v4                                 // 000000005170: 0A680934
	v_mul_f32_e32 v53, v53, v5                                 // 000000005174: 0A6A0B35
	v_mul_f32_e32 v54, v54, v6                                 // 000000005178: 0A6C0D36
	v_mul_f32_e32 v55, v55, v7                                 // 00000000517C: 0A6E0F37
	v_mul_f32_e32 v52, v52, v68                                // 000000005180: 0A688934
	v_mul_f32_e32 v53, v53, v69                                // 000000005184: 0A6A8B35
	v_mul_f32_e32 v54, v54, v70                                // 000000005188: 0A6C8D36
	v_mul_f32_e32 v55, v55, v71                                // 00000000518C: 0A6E8F37
	v_pk_mul_f32 v[4:5], v[56:57], v[56:57]                    // 000000005190: D3B14004 18027138
	v_pk_mul_f32 v[6:7], v[58:59], v[58:59]                    // 000000005198: D3B14006 1802753A
	v_pk_fma_f32 v[4:5], v[4:5], s[78:79], v[8:9]              // 0000000051A0: D3B04004 1C209D04
	v_pk_fma_f32 v[6:7], v[6:7], s[78:79], v[8:9]              // 0000000051A8: D3B04006 1C209D06
	v_pk_mul_f32 v[4:5], v[4:5], v[56:57]                      // 0000000051B0: D3B14004 18027104
	v_pk_mul_f32 v[6:7], v[6:7], v[58:59]                      // 0000000051B8: D3B14006 18027506
	v_pk_mul_f32 v[4:5], v[4:5], s[60:61]                      // 0000000051C0: D3B14004 18007904
	v_pk_mul_f32 v[6:7], v[6:7], s[60:61]                      // 0000000051C8: D3B14006 18007906
	v_exp_f32_e32 v4, v4                                       // 0000000051D0: 7E084104
	v_exp_f32_e32 v5, v5                                       // 0000000051D4: 7E0A4105
	v_exp_f32_e32 v6, v6                                       // 0000000051D8: 7E0C4106
	v_exp_f32_e32 v7, v7                                       // 0000000051DC: 7E0E4107
	v_add_f32_e64 v4, v4, 1.0                                  // 0000000051E0: D1010004 0001E504
	v_add_f32_e64 v5, v5, 1.0                                  // 0000000051E8: D1010005 0001E505
	v_add_f32_e64 v6, v6, 1.0                                  // 0000000051F0: D1010006 0001E506
	v_add_f32_e64 v7, v7, 1.0                                  // 0000000051F8: D1010007 0001E507
	v_rcp_f32_e32 v4, v4                                       // 000000005200: 7E084504
	v_rcp_f32_e32 v5, v5                                       // 000000005204: 7E0A4505
	v_rcp_f32_e32 v6, v6                                       // 000000005208: 7E0C4506
	v_rcp_f32_e32 v7, v7                                       // 00000000520C: 7E0E4507
	v_mul_f32_e32 v56, v56, v4                                 // 000000005210: 0A700938
	v_mul_f32_e32 v57, v57, v5                                 // 000000005214: 0A720B39
	v_mul_f32_e32 v58, v58, v6                                 // 000000005218: 0A740D3A
	v_mul_f32_e32 v59, v59, v7                                 // 00000000521C: 0A760F3B
	v_mul_f32_e32 v56, v56, v72                                // 000000005220: 0A709138
	v_mul_f32_e32 v57, v57, v73                                // 000000005224: 0A729339
	v_mul_f32_e32 v58, v58, v74                                // 000000005228: 0A74953A
	v_mul_f32_e32 v59, v59, v75                                // 00000000522C: 0A76973B
	s_branch label_0A90                                        // 000000005230: BF820080

0000000000005234 <label_0A10>:
	v_mul_f32_e64 v4, -v44, s6                                 // 000000005234: D1050004 20000D2C
	v_mul_f32_e64 v5, -v45, s6                                 // 00000000523C: D1050005 20000D2D
	v_mul_f32_e64 v6, -v46, s6                                 // 000000005244: D1050006 20000D2E
	v_mul_f32_e64 v7, -v47, s6                                 // 00000000524C: D1050007 20000D2F
	v_exp_f32_e32 v4, v4                                       // 000000005254: 7E084104
	v_exp_f32_e32 v5, v5                                       // 000000005258: 7E0A4105
	v_exp_f32_e32 v6, v6                                       // 00000000525C: 7E0C4106
	v_exp_f32_e32 v7, v7                                       // 000000005260: 7E0E4107
	v_add_f32_e64 v4, v4, 1.0                                  // 000000005264: D1010004 0001E504
	v_add_f32_e64 v5, v5, 1.0                                  // 00000000526C: D1010005 0001E505
	v_add_f32_e64 v6, v6, 1.0                                  // 000000005274: D1010006 0001E506
	v_add_f32_e64 v7, v7, 1.0                                  // 00000000527C: D1010007 0001E507
	v_rcp_f32_e32 v4, v4                                       // 000000005284: 7E084504
	v_rcp_f32_e32 v5, v5                                       // 000000005288: 7E0A4505
	v_rcp_f32_e32 v6, v6                                       // 00000000528C: 7E0C4506
	v_rcp_f32_e32 v7, v7                                       // 000000005290: 7E0E4507
	v_mul_f32_e32 v44, v44, v4                                 // 000000005294: 0A58092C
	v_mul_f32_e32 v45, v45, v5                                 // 000000005298: 0A5A0B2D
	v_mul_f32_e32 v46, v46, v6                                 // 00000000529C: 0A5C0D2E
	v_mul_f32_e32 v47, v47, v7                                 // 0000000052A0: 0A5E0F2F
	v_mul_f32_e32 v44, v44, v60                                // 0000000052A4: 0A58792C
	v_mul_f32_e32 v45, v45, v61                                // 0000000052A8: 0A5A7B2D
	v_mul_f32_e32 v46, v46, v62                                // 0000000052AC: 0A5C7D2E
	v_mul_f32_e32 v47, v47, v63                                // 0000000052B0: 0A5E7F2F
	v_mul_f32_e64 v4, -v48, s6                                 // 0000000052B4: D1050004 20000D30
	v_mul_f32_e64 v5, -v49, s6                                 // 0000000052BC: D1050005 20000D31
	v_mul_f32_e64 v6, -v50, s6                                 // 0000000052C4: D1050006 20000D32
	v_mul_f32_e64 v7, -v51, s6                                 // 0000000052CC: D1050007 20000D33
	v_exp_f32_e32 v4, v4                                       // 0000000052D4: 7E084104
	v_exp_f32_e32 v5, v5                                       // 0000000052D8: 7E0A4105
	v_exp_f32_e32 v6, v6                                       // 0000000052DC: 7E0C4106
	v_exp_f32_e32 v7, v7                                       // 0000000052E0: 7E0E4107
	v_add_f32_e64 v4, v4, 1.0                                  // 0000000052E4: D1010004 0001E504
	v_add_f32_e64 v5, v5, 1.0                                  // 0000000052EC: D1010005 0001E505
	v_add_f32_e64 v6, v6, 1.0                                  // 0000000052F4: D1010006 0001E506
	v_add_f32_e64 v7, v7, 1.0                                  // 0000000052FC: D1010007 0001E507
	v_rcp_f32_e32 v4, v4                                       // 000000005304: 7E084504
	v_rcp_f32_e32 v5, v5                                       // 000000005308: 7E0A4505
	v_rcp_f32_e32 v6, v6                                       // 00000000530C: 7E0C4506
	v_rcp_f32_e32 v7, v7                                       // 000000005310: 7E0E4507
	v_mul_f32_e32 v48, v48, v4                                 // 000000005314: 0A600930
	v_mul_f32_e32 v49, v49, v5                                 // 000000005318: 0A620B31
	v_mul_f32_e32 v50, v50, v6                                 // 00000000531C: 0A640D32
	v_mul_f32_e32 v51, v51, v7                                 // 000000005320: 0A660F33
	v_mul_f32_e32 v48, v48, v64                                // 000000005324: 0A608130
	v_mul_f32_e32 v49, v49, v65                                // 000000005328: 0A628331
	v_mul_f32_e32 v50, v50, v66                                // 00000000532C: 0A648532
	v_mul_f32_e32 v51, v51, v67                                // 000000005330: 0A668733
	v_mul_f32_e64 v4, -v52, s6                                 // 000000005334: D1050004 20000D34
	v_mul_f32_e64 v5, -v53, s6                                 // 00000000533C: D1050005 20000D35
	v_mul_f32_e64 v6, -v54, s6                                 // 000000005344: D1050006 20000D36
	v_mul_f32_e64 v7, -v55, s6                                 // 00000000534C: D1050007 20000D37
	v_exp_f32_e32 v4, v4                                       // 000000005354: 7E084104
	v_exp_f32_e32 v5, v5                                       // 000000005358: 7E0A4105
	v_exp_f32_e32 v6, v6                                       // 00000000535C: 7E0C4106
	v_exp_f32_e32 v7, v7                                       // 000000005360: 7E0E4107
	v_add_f32_e64 v4, v4, 1.0                                  // 000000005364: D1010004 0001E504
	v_add_f32_e64 v5, v5, 1.0                                  // 00000000536C: D1010005 0001E505
	v_add_f32_e64 v6, v6, 1.0                                  // 000000005374: D1010006 0001E506
	v_add_f32_e64 v7, v7, 1.0                                  // 00000000537C: D1010007 0001E507
	v_rcp_f32_e32 v4, v4                                       // 000000005384: 7E084504
	v_rcp_f32_e32 v5, v5                                       // 000000005388: 7E0A4505
	v_rcp_f32_e32 v6, v6                                       // 00000000538C: 7E0C4506
	v_rcp_f32_e32 v7, v7                                       // 000000005390: 7E0E4507
	v_mul_f32_e32 v52, v52, v4                                 // 000000005394: 0A680934
	v_mul_f32_e32 v53, v53, v5                                 // 000000005398: 0A6A0B35
	v_mul_f32_e32 v54, v54, v6                                 // 00000000539C: 0A6C0D36
	v_mul_f32_e32 v55, v55, v7                                 // 0000000053A0: 0A6E0F37
	v_mul_f32_e32 v52, v52, v68                                // 0000000053A4: 0A688934
	v_mul_f32_e32 v53, v53, v69                                // 0000000053A8: 0A6A8B35
	v_mul_f32_e32 v54, v54, v70                                // 0000000053AC: 0A6C8D36
	v_mul_f32_e32 v55, v55, v71                                // 0000000053B0: 0A6E8F37
	v_mul_f32_e64 v4, -v56, s6                                 // 0000000053B4: D1050004 20000D38
	v_mul_f32_e64 v5, -v57, s6                                 // 0000000053BC: D1050005 20000D39
	v_mul_f32_e64 v6, -v58, s6                                 // 0000000053C4: D1050006 20000D3A
	v_mul_f32_e64 v7, -v59, s6                                 // 0000000053CC: D1050007 20000D3B
	v_exp_f32_e32 v4, v4                                       // 0000000053D4: 7E084104
	v_exp_f32_e32 v5, v5                                       // 0000000053D8: 7E0A4105
	v_exp_f32_e32 v6, v6                                       // 0000000053DC: 7E0C4106
	v_exp_f32_e32 v7, v7                                       // 0000000053E0: 7E0E4107
	v_add_f32_e64 v4, v4, 1.0                                  // 0000000053E4: D1010004 0001E504
	v_add_f32_e64 v5, v5, 1.0                                  // 0000000053EC: D1010005 0001E505
	v_add_f32_e64 v6, v6, 1.0                                  // 0000000053F4: D1010006 0001E506
	v_add_f32_e64 v7, v7, 1.0                                  // 0000000053FC: D1010007 0001E507
	v_rcp_f32_e32 v4, v4                                       // 000000005404: 7E084504
	v_rcp_f32_e32 v5, v5                                       // 000000005408: 7E0A4505
	v_rcp_f32_e32 v6, v6                                       // 00000000540C: 7E0C4506
	v_rcp_f32_e32 v7, v7                                       // 000000005410: 7E0E4507
	v_mul_f32_e32 v56, v56, v4                                 // 000000005414: 0A700938
	v_mul_f32_e32 v57, v57, v5                                 // 000000005418: 0A720B39
	v_mul_f32_e32 v58, v58, v6                                 // 00000000541C: 0A740D3A
	v_mul_f32_e32 v59, v59, v7                                 // 000000005420: 0A760F3B
	v_mul_f32_e32 v56, v56, v72                                // 000000005424: 0A709138
	v_mul_f32_e32 v57, v57, v73                                // 000000005428: 0A729339
	v_mul_f32_e32 v58, v58, v74                                // 00000000542C: 0A74953A
	v_mul_f32_e32 v59, v59, v75                                // 000000005430: 0A76973B

0000000000005434 <label_0A90>:
	v_cmp_u_f32_e64 s[46:47], v44, v44                         // 000000005434: D048002E 0002592C
	v_add3_u32 v16, v44, v19, 1                                // 00000000543C: D1FF0010 0206272C
	v_cndmask_b32_e64 v4, v16, v18, s[46:47]                   // 000000005444: D1000004 00BA2510
	v_cmp_u_f32_e64 s[46:47], v45, v45                         // 00000000544C: D048002E 00025B2D
	v_add3_u32 v16, v45, v19, 1                                // 000000005454: D1FF0010 0206272D
	v_cndmask_b32_e64 v5, v16, v18, s[46:47]                   // 00000000545C: D1000005 00BA2510
	v_perm_b32 v44, v5, v4, s52                                // 000000005464: D1ED002C 00D20905
	v_cmp_u_f32_e64 s[46:47], v46, v46                         // 00000000546C: D048002E 00025D2E
	v_add3_u32 v16, v46, v19, 1                                // 000000005474: D1FF0010 0206272E
	v_cndmask_b32_e64 v4, v16, v18, s[46:47]                   // 00000000547C: D1000004 00BA2510
	v_cmp_u_f32_e64 s[46:47], v47, v47                         // 000000005484: D048002E 00025F2F
	v_add3_u32 v16, v47, v19, 1                                // 00000000548C: D1FF0010 0206272F
	v_cndmask_b32_e64 v5, v16, v18, s[46:47]                   // 000000005494: D1000005 00BA2510
	v_perm_b32 v45, v5, v4, s52                                // 00000000549C: D1ED002D 00D20905
	v_cmp_u_f32_e64 s[46:47], v48, v48                         // 0000000054A4: D048002E 00026130
	v_add3_u32 v16, v48, v19, 1                                // 0000000054AC: D1FF0010 02062730
	v_cndmask_b32_e64 v4, v16, v18, s[46:47]                   // 0000000054B4: D1000004 00BA2510
	v_cmp_u_f32_e64 s[46:47], v49, v49                         // 0000000054BC: D048002E 00026331
	v_add3_u32 v16, v49, v19, 1                                // 0000000054C4: D1FF0010 02062731
	v_cndmask_b32_e64 v5, v16, v18, s[46:47]                   // 0000000054CC: D1000005 00BA2510
	v_perm_b32 v46, v5, v4, s52                                // 0000000054D4: D1ED002E 00D20905
	v_cmp_u_f32_e64 s[46:47], v50, v50                         // 0000000054DC: D048002E 00026532
	v_add3_u32 v16, v50, v19, 1                                // 0000000054E4: D1FF0010 02062732
	v_cndmask_b32_e64 v4, v16, v18, s[46:47]                   // 0000000054EC: D1000004 00BA2510
	v_cmp_u_f32_e64 s[46:47], v51, v51                         // 0000000054F4: D048002E 00026733
	v_add3_u32 v16, v51, v19, 1                                // 0000000054FC: D1FF0010 02062733
	v_cndmask_b32_e64 v5, v16, v18, s[46:47]                   // 000000005504: D1000005 00BA2510
	v_perm_b32 v47, v5, v4, s52                                // 00000000550C: D1ED002F 00D20905
	v_cmp_u_f32_e64 s[46:47], v52, v52                         // 000000005514: D048002E 00026934
	v_add3_u32 v16, v52, v19, 1                                // 00000000551C: D1FF0010 02062734
	v_cndmask_b32_e64 v4, v16, v18, s[46:47]                   // 000000005524: D1000004 00BA2510
	v_cmp_u_f32_e64 s[46:47], v53, v53                         // 00000000552C: D048002E 00026B35
	v_add3_u32 v16, v53, v19, 1                                // 000000005534: D1FF0010 02062735
	v_cndmask_b32_e64 v5, v16, v18, s[46:47]                   // 00000000553C: D1000005 00BA2510
	v_perm_b32 v48, v5, v4, s52                                // 000000005544: D1ED0030 00D20905
	v_cmp_u_f32_e64 s[46:47], v54, v54                         // 00000000554C: D048002E 00026D36
	v_add3_u32 v16, v54, v19, 1                                // 000000005554: D1FF0010 02062736
	v_cndmask_b32_e64 v4, v16, v18, s[46:47]                   // 00000000555C: D1000004 00BA2510
	v_cmp_u_f32_e64 s[46:47], v55, v55                         // 000000005564: D048002E 00026F37
	v_add3_u32 v16, v55, v19, 1                                // 00000000556C: D1FF0010 02062737
	v_cndmask_b32_e64 v5, v16, v18, s[46:47]                   // 000000005574: D1000005 00BA2510
	v_perm_b32 v49, v5, v4, s52                                // 00000000557C: D1ED0031 00D20905
	v_cmp_u_f32_e64 s[46:47], v56, v56                         // 000000005584: D048002E 00027138
	v_add3_u32 v16, v56, v19, 1                                // 00000000558C: D1FF0010 02062738
	v_cndmask_b32_e64 v4, v16, v18, s[46:47]                   // 000000005594: D1000004 00BA2510
	v_cmp_u_f32_e64 s[46:47], v57, v57                         // 00000000559C: D048002E 00027339
	v_add3_u32 v16, v57, v19, 1                                // 0000000055A4: D1FF0010 02062739
	v_cndmask_b32_e64 v5, v16, v18, s[46:47]                   // 0000000055AC: D1000005 00BA2510
	v_perm_b32 v50, v5, v4, s52                                // 0000000055B4: D1ED0032 00D20905
	v_cmp_u_f32_e64 s[46:47], v58, v58                         // 0000000055BC: D048002E 0002753A
	v_add3_u32 v16, v58, v19, 1                                // 0000000055C4: D1FF0010 0206273A
	v_cndmask_b32_e64 v4, v16, v18, s[46:47]                   // 0000000055CC: D1000004 00BA2510
	v_cmp_u_f32_e64 s[46:47], v59, v59                         // 0000000055D4: D048002E 0002773B
	v_add3_u32 v16, v59, v19, 1                                // 0000000055DC: D1FF0010 0206273B
	v_cndmask_b32_e64 v5, v16, v18, s[46:47]                   // 0000000055E4: D1000005 00BA2510
	v_perm_b32 v51, v5, v4, s52                                // 0000000055EC: D1ED0033 00D20905
	ds_write_b64 v20, v[44:45]                                 // 0000000055F4: D89A0000 00002C14
	ds_write_b64 v20, v[46:47] offset:4352                     // 0000000055FC: D89A1100 00002E14
	ds_write_b64 v20, v[48:49] offset:2176                     // 000000005604: D89A0880 00003014
	ds_write_b64 v20, v[50:51] offset:6528                     // 00000000560C: D89A1980 00003214
	v_lshrrev_b32_e32 v4, 5, v0                                // 000000005614: 20080085
	v_xor_b32_e32 v5, 1, v4                                    // 000000005618: 2A0A0881
	s_mul_i32 s60, s65, 2                                      // 00000000561C: 923C8241
	s_cmp_eq_u32 s88, 0                                        // 000000005620: BF068058
	s_cselect_b32 s61, 1, 4                                    // 000000005624: 853D8481
	s_mul_i32 s60, s61, s60                                    // 000000005628: 923C3C3D
	v_readlane_b32 s82, v3, 0                                  // 00000000562C: D2890052 00010103
	s_lshr_b32 s61, s82, 24                                    // 000000005634: 8F3D9852
	s_and_b32 s82, s82, 0xffffff                               // 000000005638: 8652FF52 00FFFFFF
	s_mul_i32 s82, s82, s71                                    // 000000005640: 92524752
	s_mul_i32 s61, s60, s61                                    // 000000005644: 923D3D3C
	s_add_u32 s82, s82, s61                                    // 000000005648: 80523D52
	v_mul_lo_u32 v6, v5, s82                                   // 00000000564C: D2850006 0000A505
	v_readlane_b32 s82, v3, 1                                  // 000000005654: D2890052 00010303
	s_lshr_b32 s61, s82, 24                                    // 00000000565C: 8F3D9852
	s_and_b32 s82, s82, 0xffffff                               // 000000005660: 8652FF52 00FFFFFF
	s_mul_i32 s82, s82, s71                                    // 000000005668: 92524752
	s_mul_i32 s61, s60, s61                                    // 00000000566C: 923D3D3C
	s_add_u32 s82, s82, s61                                    // 000000005670: 80523D52
	v_mul_lo_u32 v7, v4, s82                                   // 000000005674: D2850007 0000A504
	v_add_u32_e32 v36, v6, v7                                  // 00000000567C: 68480F06
	v_readlane_b32 s82, v3, 2                                  // 000000005680: D2890052 00010503
	s_lshr_b32 s61, s82, 24                                    // 000000005688: 8F3D9852
	s_and_b32 s82, s82, 0xffffff                               // 00000000568C: 8652FF52 00FFFFFF
	s_mul_i32 s82, s82, s71                                    // 000000005694: 92524752
	s_mul_i32 s61, s60, s61                                    // 000000005698: 923D3D3C
	s_add_u32 s82, s82, s61                                    // 00000000569C: 80523D52
	v_mul_lo_u32 v6, v5, s82                                   // 0000000056A0: D2850006 0000A505
	v_readlane_b32 s82, v3, 3                                  // 0000000056A8: D2890052 00010703
	s_lshr_b32 s61, s82, 24                                    // 0000000056B0: 8F3D9852
	s_and_b32 s82, s82, 0xffffff                               // 0000000056B4: 8652FF52 00FFFFFF
	s_mul_i32 s82, s82, s71                                    // 0000000056BC: 92524752
	s_mul_i32 s61, s60, s61                                    // 0000000056C0: 923D3D3C
	s_add_u32 s82, s82, s61                                    // 0000000056C4: 80523D52
	v_mul_lo_u32 v7, v4, s82                                   // 0000000056C8: D2850007 0000A504
	v_add_u32_e32 v37, v6, v7                                  // 0000000056D0: 684A0F06
	v_readlane_b32 s82, v3, 4                                  // 0000000056D4: D2890052 00010903
	s_lshr_b32 s61, s82, 24                                    // 0000000056DC: 8F3D9852
	s_and_b32 s82, s82, 0xffffff                               // 0000000056E0: 8652FF52 00FFFFFF
	s_mul_i32 s82, s82, s71                                    // 0000000056E8: 92524752
	s_mul_i32 s61, s60, s61                                    // 0000000056EC: 923D3D3C
	s_add_u32 s82, s82, s61                                    // 0000000056F0: 80523D52
	v_mul_lo_u32 v6, v5, s82                                   // 0000000056F4: D2850006 0000A505
	v_readlane_b32 s82, v3, 5                                  // 0000000056FC: D2890052 00010B03
	s_lshr_b32 s61, s82, 24                                    // 000000005704: 8F3D9852
	s_and_b32 s82, s82, 0xffffff                               // 000000005708: 8652FF52 00FFFFFF
	s_mul_i32 s82, s82, s71                                    // 000000005710: 92524752
	s_mul_i32 s61, s60, s61                                    // 000000005714: 923D3D3C
	s_add_u32 s82, s82, s61                                    // 000000005718: 80523D52
	v_mul_lo_u32 v7, v4, s82                                   // 00000000571C: D2850007 0000A504
	v_add_u32_e32 v38, v6, v7                                  // 000000005724: 684C0F06
	v_readlane_b32 s82, v3, 6                                  // 000000005728: D2890052 00010D03
	s_lshr_b32 s61, s82, 24                                    // 000000005730: 8F3D9852
	s_and_b32 s82, s82, 0xffffff                               // 000000005734: 8652FF52 00FFFFFF
	s_mul_i32 s82, s82, s71                                    // 00000000573C: 92524752
	s_mul_i32 s61, s60, s61                                    // 000000005740: 923D3D3C
	s_add_u32 s82, s82, s61                                    // 000000005744: 80523D52
	v_mul_lo_u32 v6, v5, s82                                   // 000000005748: D2850006 0000A505
	v_readlane_b32 s82, v3, 7                                  // 000000005750: D2890052 00010F03
	s_lshr_b32 s61, s82, 24                                    // 000000005758: 8F3D9852
	s_and_b32 s82, s82, 0xffffff                               // 00000000575C: 8652FF52 00FFFFFF
	s_mul_i32 s82, s82, s71                                    // 000000005764: 92524752
	s_mul_i32 s61, s60, s61                                    // 000000005768: 923D3D3C
	s_add_u32 s82, s82, s61                                    // 00000000576C: 80523D52
	v_mul_lo_u32 v7, v4, s82                                   // 000000005770: D2850007 0000A504
	v_add_u32_e32 v39, v6, v7                                  // 000000005778: 684E0F06
	v_and_b32_e32 v4, 31, v0                                   // 00000000577C: 2608009F
	v_lshrrev_b32_e32 v4, 1, v4                                // 000000005780: 20080881
	s_cmp_eq_u32 s88, 0                                        // 000000005784: BF068058
	s_cselect_b32 s61, 2, 4                                    // 000000005788: 853D8482
	v_mul_lo_u32 v4, v4, s61                                   // 00000000578C: D2850004 00007B04
	v_and_b32_e64 v5, v0, 1                                    // 000000005794: D1130005 00010300
	v_add_u32_e32 v4, v4, v5                                   // 00000000579C: 68080B04
	v_lshlrev_b32_e32 v4, 2, v4                                // 0000000057A0: 24080882
	v_add_u32_e32 v36, v36, v4                                 // 0000000057A4: 68480924
	v_add_u32_e32 v37, v37, v4                                 // 0000000057A8: 684A0925
	v_add_u32_e32 v38, v38, v4                                 // 0000000057AC: 684C0926
	v_add_u32_e32 v39, v39, v4                                 // 0000000057B0: 684E0927
	s_waitcnt lgkmcnt(0)                                       // 0000000057B4: BF8CC07F
	s_barrier                                                  // 0000000057B8: BF8A0000
	ds_read_b32 v44, v21                                       // 0000000057BC: D86C0000 2C000015
	ds_read_b32 v45, v21 offset:64                             // 0000000057C4: D86C0040 2D000015
	ds_read_b32 v46, v21 offset:2176                           // 0000000057CC: D86C0880 2E000015
	ds_read_b32 v47, v21 offset:2240                           // 0000000057D4: D86C08C0 2F000015
	ds_read_b32 v48, v21 offset:4352                           // 0000000057DC: D86C1100 30000015
	ds_read_b32 v49, v21 offset:4416                           // 0000000057E4: D86C1140 31000015
	ds_read_b32 v50, v21 offset:6528                           // 0000000057EC: D86C1980 32000015
	ds_read_b32 v51, v21 offset:6592                           // 0000000057F4: D86C19C0 33000015
	s_waitcnt lgkmcnt(0)                                       // 0000000057FC: BF8CC07F
	s_mov_b32 s36, -1                                          // 000000005800: BEA400C1
	s_mov_b32 s37, -1                                          // 000000005804: BEA500C1
	v_mov_b32_e32 v7, 0                                        // 000000005808: 7E0E0280
	s_or_b32 s9, s9, 0x40000                                   // 00000000580C: 8709FF09 00040000
	s_mov_b64 exec, s[36:37]                                   // 000000005814: BEFE0124
	v_mov_b32_e32 v6, v36                                      // 000000005818: 7E0C0324
	s_mov_b64 s[60:61], 0                                      // 00000000581C: BEBC0180
	v_readlane_b32 s82, v3, 0                                  // 000000005820: D2890052 00010103
	s_and_b32 s82, s82, 0xffffff                               // 000000005828: 8652FF52 00FFFFFF
	s_cmp_lt_u32 s82, s66                                      // 000000005830: BF0A4252
	s_cselect_b32 s20, s36, s60                                // 000000005834: 85143C24
	v_readlane_b32 s82, v3, 1                                  // 000000005838: D2890052 00010303
	s_and_b32 s82, s82, 0xffffff                               // 000000005840: 8652FF52 00FFFFFF
	s_cmp_lt_u32 s82, s66                                      // 000000005848: BF0A4252
	s_cselect_b32 s21, s36, s60                                // 00000000584C: 85153C24
	s_mov_b64 exec, s[20:21]                                   // 000000005850: BEFE0114
	buffer_store_dword v44, v6, s[8:11], 0 offen               // 000000005854: E0701000 80022C06
	buffer_store_dword v46, v6, s[8:11], 0 offen offset:128    // 00000000585C: E0701080 80022E06
	s_mov_b64 exec, s[36:37]                                   // 000000005864: BEFE0124
	v_mov_b32_e32 v6, v37                                      // 000000005868: 7E0C0325
	s_mov_b64 s[60:61], 0                                      // 00000000586C: BEBC0180
	v_readlane_b32 s82, v3, 2                                  // 000000005870: D2890052 00010503
	s_and_b32 s82, s82, 0xffffff                               // 000000005878: 8652FF52 00FFFFFF
	s_cmp_lt_u32 s82, s66                                      // 000000005880: BF0A4252
	s_cselect_b32 s20, s36, s60                                // 000000005884: 85143C24
	v_readlane_b32 s82, v3, 3                                  // 000000005888: D2890052 00010703
	s_and_b32 s82, s82, 0xffffff                               // 000000005890: 8652FF52 00FFFFFF
	s_cmp_lt_u32 s82, s66                                      // 000000005898: BF0A4252
	s_cselect_b32 s21, s36, s60                                // 00000000589C: 85153C24
	s_mov_b64 exec, s[20:21]                                   // 0000000058A0: BEFE0114
	buffer_store_dword v45, v6, s[8:11], 0 offen               // 0000000058A4: E0701000 80022D06
	buffer_store_dword v47, v6, s[8:11], 0 offen offset:128    // 0000000058AC: E0701080 80022F06
	s_mov_b64 exec, s[36:37]                                   // 0000000058B4: BEFE0124
	v_mov_b32_e32 v6, v38                                      // 0000000058B8: 7E0C0326
	s_mov_b64 s[60:61], 0                                      // 0000000058BC: BEBC0180
	v_readlane_b32 s82, v3, 4                                  // 0000000058C0: D2890052 00010903
	s_and_b32 s82, s82, 0xffffff                               // 0000000058C8: 8652FF52 00FFFFFF
	s_cmp_lt_u32 s82, s66                                      // 0000000058D0: BF0A4252
	s_cselect_b32 s20, s36, s60                                // 0000000058D4: 85143C24
	v_readlane_b32 s82, v3, 5                                  // 0000000058D8: D2890052 00010B03
	s_and_b32 s82, s82, 0xffffff                               // 0000000058E0: 8652FF52 00FFFFFF
	s_cmp_lt_u32 s82, s66                                      // 0000000058E8: BF0A4252
	s_cselect_b32 s21, s36, s60                                // 0000000058EC: 85153C24
	s_mov_b64 exec, s[20:21]                                   // 0000000058F0: BEFE0114
	buffer_store_dword v48, v6, s[8:11], 0 offen               // 0000000058F4: E0701000 80023006
	buffer_store_dword v50, v6, s[8:11], 0 offen offset:128    // 0000000058FC: E0701080 80023206
	s_mov_b64 exec, s[36:37]                                   // 000000005904: BEFE0124
	v_mov_b32_e32 v6, v39                                      // 000000005908: 7E0C0327
	s_mov_b64 s[60:61], 0                                      // 00000000590C: BEBC0180
	v_readlane_b32 s82, v3, 6                                  // 000000005910: D2890052 00010D03
	s_and_b32 s82, s82, 0xffffff                               // 000000005918: 8652FF52 00FFFFFF
	s_cmp_lt_u32 s82, s66                                      // 000000005920: BF0A4252
	s_cselect_b32 s20, s36, s60                                // 000000005924: 85143C24
	v_readlane_b32 s82, v3, 7                                  // 000000005928: D2890052 00010F03
	s_and_b32 s82, s82, 0xffffff                               // 000000005930: 8652FF52 00FFFFFF
	s_cmp_lt_u32 s82, s66                                      // 000000005938: BF0A4252
	s_cselect_b32 s21, s36, s60                                // 00000000593C: 85153C24
	s_mov_b64 exec, s[20:21]                                   // 000000005940: BEFE0114
	buffer_store_dword v49, v6, s[8:11], 0 offen               // 000000005944: E0701000 80023106
	buffer_store_dword v51, v6, s[8:11], 0 offen offset:128    // 00000000594C: E0701080 80023306
	s_mov_b64 exec, s[36:37]                                   // 000000005954: BEFE0124
	s_branch label_0DFC                                        // 000000005958: BF820222

000000000000595c <label_0BDA>:
	ds_write_b64 v20, v[44:45]                                 // 00000000595C: D89A0000 00002C14
	ds_write_b64 v20, v[48:49] offset:4352                     // 000000005964: D89A1100 00003014
	ds_write_b64 v20, v[52:53] offset:2176                     // 00000000596C: D89A0880 00003414
	ds_write_b64 v20, v[56:57] offset:6528                     // 000000005974: D89A1980 00003814
	v_lshrrev_b32_e32 v4, 5, v0                                // 00000000597C: 20080085
	v_xor_b32_e32 v5, 1, v4                                    // 000000005980: 2A0A0881
	s_mul_i32 s60, s65, 2                                      // 000000005984: 923C8241
	s_cmp_eq_u32 s88, 0                                        // 000000005988: BF068058
	s_cselect_b32 s61, 1, 4                                    // 00000000598C: 853D8481
	s_mul_i32 s60, s61, s60                                    // 000000005990: 923C3C3D
	v_readlane_b32 s82, v3, 0                                  // 000000005994: D2890052 00010103
	s_lshr_b32 s61, s82, 24                                    // 00000000599C: 8F3D9852
	s_and_b32 s82, s82, 0xffffff                               // 0000000059A0: 8652FF52 00FFFFFF
	s_mul_i32 s82, s82, s71                                    // 0000000059A8: 92524752
	s_mul_i32 s61, s60, s61                                    // 0000000059AC: 923D3D3C
	s_add_u32 s82, s82, s61                                    // 0000000059B0: 80523D52
	v_mul_lo_u32 v6, v5, s82                                   // 0000000059B4: D2850006 0000A505
	v_readlane_b32 s82, v3, 1                                  // 0000000059BC: D2890052 00010303
	s_lshr_b32 s61, s82, 24                                    // 0000000059C4: 8F3D9852
	s_and_b32 s82, s82, 0xffffff                               // 0000000059C8: 8652FF52 00FFFFFF
	s_mul_i32 s82, s82, s71                                    // 0000000059D0: 92524752
	s_mul_i32 s61, s60, s61                                    // 0000000059D4: 923D3D3C
	s_add_u32 s82, s82, s61                                    // 0000000059D8: 80523D52
	v_mul_lo_u32 v7, v4, s82                                   // 0000000059DC: D2850007 0000A504
	v_add_u32_e32 v36, v6, v7                                  // 0000000059E4: 68480F06
	v_readlane_b32 s82, v3, 2                                  // 0000000059E8: D2890052 00010503
	s_lshr_b32 s61, s82, 24                                    // 0000000059F0: 8F3D9852
	s_and_b32 s82, s82, 0xffffff                               // 0000000059F4: 8652FF52 00FFFFFF
	s_mul_i32 s82, s82, s71                                    // 0000000059FC: 92524752
	s_mul_i32 s61, s60, s61                                    // 000000005A00: 923D3D3C
	s_add_u32 s82, s82, s61                                    // 000000005A04: 80523D52
	v_mul_lo_u32 v6, v5, s82                                   // 000000005A08: D2850006 0000A505
	v_readlane_b32 s82, v3, 3                                  // 000000005A10: D2890052 00010703
	s_lshr_b32 s61, s82, 24                                    // 000000005A18: 8F3D9852
	s_and_b32 s82, s82, 0xffffff                               // 000000005A1C: 8652FF52 00FFFFFF
	s_mul_i32 s82, s82, s71                                    // 000000005A24: 92524752
	s_mul_i32 s61, s60, s61                                    // 000000005A28: 923D3D3C
	s_add_u32 s82, s82, s61                                    // 000000005A2C: 80523D52
	v_mul_lo_u32 v7, v4, s82                                   // 000000005A30: D2850007 0000A504
	v_add_u32_e32 v37, v6, v7                                  // 000000005A38: 684A0F06
	v_readlane_b32 s82, v3, 4                                  // 000000005A3C: D2890052 00010903
	s_lshr_b32 s61, s82, 24                                    // 000000005A44: 8F3D9852
	s_and_b32 s82, s82, 0xffffff                               // 000000005A48: 8652FF52 00FFFFFF
	s_mul_i32 s82, s82, s71                                    // 000000005A50: 92524752
	s_mul_i32 s61, s60, s61                                    // 000000005A54: 923D3D3C
	s_add_u32 s82, s82, s61                                    // 000000005A58: 80523D52
	v_mul_lo_u32 v6, v5, s82                                   // 000000005A5C: D2850006 0000A505
	v_readlane_b32 s82, v3, 5                                  // 000000005A64: D2890052 00010B03
	s_lshr_b32 s61, s82, 24                                    // 000000005A6C: 8F3D9852
	s_and_b32 s82, s82, 0xffffff                               // 000000005A70: 8652FF52 00FFFFFF
	s_mul_i32 s82, s82, s71                                    // 000000005A78: 92524752
	s_mul_i32 s61, s60, s61                                    // 000000005A7C: 923D3D3C
	s_add_u32 s82, s82, s61                                    // 000000005A80: 80523D52
	v_mul_lo_u32 v7, v4, s82                                   // 000000005A84: D2850007 0000A504
	v_add_u32_e32 v38, v6, v7                                  // 000000005A8C: 684C0F06
	v_readlane_b32 s82, v3, 6                                  // 000000005A90: D2890052 00010D03
	s_lshr_b32 s61, s82, 24                                    // 000000005A98: 8F3D9852
	s_and_b32 s82, s82, 0xffffff                               // 000000005A9C: 8652FF52 00FFFFFF
	s_mul_i32 s82, s82, s71                                    // 000000005AA4: 92524752
	s_mul_i32 s61, s60, s61                                    // 000000005AA8: 923D3D3C
	s_add_u32 s82, s82, s61                                    // 000000005AAC: 80523D52
	v_mul_lo_u32 v6, v5, s82                                   // 000000005AB0: D2850006 0000A505
	v_readlane_b32 s82, v3, 7                                  // 000000005AB8: D2890052 00010F03
	s_lshr_b32 s61, s82, 24                                    // 000000005AC0: 8F3D9852
	s_and_b32 s82, s82, 0xffffff                               // 000000005AC4: 8652FF52 00FFFFFF
	s_mul_i32 s82, s82, s71                                    // 000000005ACC: 92524752
	s_mul_i32 s61, s60, s61                                    // 000000005AD0: 923D3D3C
	s_add_u32 s82, s82, s61                                    // 000000005AD4: 80523D52
	v_mul_lo_u32 v7, v4, s82                                   // 000000005AD8: D2850007 0000A504
	v_add_u32_e32 v39, v6, v7                                  // 000000005AE0: 684E0F06
	v_and_b32_e32 v4, 31, v0                                   // 000000005AE4: 2608009F
	v_lshrrev_b32_e32 v4, 1, v4                                // 000000005AE8: 20080881
	s_cmp_eq_u32 s88, 0                                        // 000000005AEC: BF068058
	s_cselect_b32 s61, 2, 4                                    // 000000005AF0: 853D8482
	v_mul_lo_u32 v4, v4, s61                                   // 000000005AF4: D2850004 00007B04
	v_and_b32_e64 v5, v0, 1                                    // 000000005AFC: D1130005 00010300
	v_add_u32_e32 v4, v4, v5                                   // 000000005B04: 68080B04
	v_lshlrev_b32_e32 v4, 2, v4                                // 000000005B08: 24080882
	v_add_u32_e32 v36, v36, v4                                 // 000000005B0C: 68480924
	v_add_u32_e32 v37, v37, v4                                 // 000000005B10: 684A0925
	v_add_u32_e32 v38, v38, v4                                 // 000000005B14: 684C0926
	v_add_u32_e32 v39, v39, v4                                 // 000000005B18: 684E0927
	s_waitcnt lgkmcnt(0)                                       // 000000005B1C: BF8CC07F
	s_barrier                                                  // 000000005B20: BF8A0000
	ds_read_b32 v44, v21                                       // 000000005B24: D86C0000 2C000015
	ds_read_b32 v45, v21 offset:64                             // 000000005B2C: D86C0040 2D000015
	ds_read_b32 v48, v21 offset:2176                           // 000000005B34: D86C0880 30000015
	ds_read_b32 v49, v21 offset:2240                           // 000000005B3C: D86C08C0 31000015
	ds_read_b32 v52, v21 offset:4352                           // 000000005B44: D86C1100 34000015
	ds_read_b32 v53, v21 offset:4416                           // 000000005B4C: D86C1140 35000015
	ds_read_b32 v56, v21 offset:6528                           // 000000005B54: D86C1980 38000015
	ds_read_b32 v57, v21 offset:6592                           // 000000005B5C: D86C19C0 39000015
	s_waitcnt lgkmcnt(0)                                       // 000000005B64: BF8CC07F
	s_mov_b32 s36, -1                                          // 000000005B68: BEA400C1
	s_mov_b32 s37, -1                                          // 000000005B6C: BEA500C1
	v_mov_b32_e32 v7, 0                                        // 000000005B70: 7E0E0280
	s_mov_b64 exec, s[36:37]                                   // 000000005B74: BEFE0124
	v_mov_b32_e32 v6, v36                                      // 000000005B78: 7E0C0324
	s_mov_b64 s[60:61], 0                                      // 000000005B7C: BEBC0180
	v_readlane_b32 s82, v3, 0                                  // 000000005B80: D2890052 00010103
	s_and_b32 s82, s82, 0xffffff                               // 000000005B88: 8652FF52 00FFFFFF
	s_cmp_lt_u32 s82, s66                                      // 000000005B90: BF0A4252
	s_cselect_b32 s20, s36, s60                                // 000000005B94: 85143C24
	v_readlane_b32 s82, v3, 1                                  // 000000005B98: D2890052 00010303
	s_and_b32 s82, s82, 0xffffff                               // 000000005BA0: 8652FF52 00FFFFFF
	s_cmp_lt_u32 s82, s66                                      // 000000005BA8: BF0A4252
	s_cselect_b32 s21, s36, s60                                // 000000005BAC: 85153C24
	s_mov_b64 exec, s[20:21]                                   // 000000005BB0: BEFE0114
	global_atomic_add_f32 v6, v44, s[8:9]                      // 000000005BB4: DD348000 00082C06
	global_atomic_add_f32 v6, v48, s[8:9] offset:256           // 000000005BBC: DD348100 00083006
	s_mov_b64 exec, s[36:37]                                   // 000000005BC4: BEFE0124
	v_mov_b32_e32 v6, v37                                      // 000000005BC8: 7E0C0325
	s_mov_b64 s[60:61], 0                                      // 000000005BCC: BEBC0180
	v_readlane_b32 s82, v3, 2                                  // 000000005BD0: D2890052 00010503
	s_and_b32 s82, s82, 0xffffff                               // 000000005BD8: 8652FF52 00FFFFFF
	s_cmp_lt_u32 s82, s66                                      // 000000005BE0: BF0A4252
	s_cselect_b32 s20, s36, s60                                // 000000005BE4: 85143C24
	v_readlane_b32 s82, v3, 3                                  // 000000005BE8: D2890052 00010703
	s_and_b32 s82, s82, 0xffffff                               // 000000005BF0: 8652FF52 00FFFFFF
	s_cmp_lt_u32 s82, s66                                      // 000000005BF8: BF0A4252
	s_cselect_b32 s21, s36, s60                                // 000000005BFC: 85153C24
	s_mov_b64 exec, s[20:21]                                   // 000000005C00: BEFE0114
	global_atomic_add_f32 v6, v45, s[8:9]                      // 000000005C04: DD348000 00082D06
	global_atomic_add_f32 v6, v49, s[8:9] offset:256           // 000000005C0C: DD348100 00083106
	s_mov_b64 exec, s[36:37]                                   // 000000005C14: BEFE0124
	v_mov_b32_e32 v6, v38                                      // 000000005C18: 7E0C0326
	s_mov_b64 s[60:61], 0                                      // 000000005C1C: BEBC0180
	v_readlane_b32 s82, v3, 4                                  // 000000005C20: D2890052 00010903
	s_and_b32 s82, s82, 0xffffff                               // 000000005C28: 8652FF52 00FFFFFF
	s_cmp_lt_u32 s82, s66                                      // 000000005C30: BF0A4252
	s_cselect_b32 s20, s36, s60                                // 000000005C34: 85143C24
	v_readlane_b32 s82, v3, 5                                  // 000000005C38: D2890052 00010B03
	s_and_b32 s82, s82, 0xffffff                               // 000000005C40: 8652FF52 00FFFFFF
	s_cmp_lt_u32 s82, s66                                      // 000000005C48: BF0A4252
	s_cselect_b32 s21, s36, s60                                // 000000005C4C: 85153C24
	s_mov_b64 exec, s[20:21]                                   // 000000005C50: BEFE0114
	global_atomic_add_f32 v6, v52, s[8:9]                      // 000000005C54: DD348000 00083406
	global_atomic_add_f32 v6, v56, s[8:9] offset:256           // 000000005C5C: DD348100 00083806
	s_mov_b64 exec, s[36:37]                                   // 000000005C64: BEFE0124
	v_mov_b32_e32 v6, v39                                      // 000000005C68: 7E0C0327
	s_mov_b64 s[60:61], 0                                      // 000000005C6C: BEBC0180
	v_readlane_b32 s82, v3, 6                                  // 000000005C70: D2890052 00010D03
	s_and_b32 s82, s82, 0xffffff                               // 000000005C78: 8652FF52 00FFFFFF
	s_cmp_lt_u32 s82, s66                                      // 000000005C80: BF0A4252
	s_cselect_b32 s20, s36, s60                                // 000000005C84: 85143C24
	v_readlane_b32 s82, v3, 7                                  // 000000005C88: D2890052 00010F03
	s_and_b32 s82, s82, 0xffffff                               // 000000005C90: 8652FF52 00FFFFFF
	s_cmp_lt_u32 s82, s66                                      // 000000005C98: BF0A4252
	s_cselect_b32 s21, s36, s60                                // 000000005C9C: 85153C24
	s_mov_b64 exec, s[20:21]                                   // 000000005CA0: BEFE0114
	global_atomic_add_f32 v6, v53, s[8:9]                      // 000000005CA4: DD348000 00083506
	global_atomic_add_f32 v6, v57, s[8:9] offset:256           // 000000005CAC: DD348100 00083906
	s_mov_b64 exec, s[36:37]                                   // 000000005CB4: BEFE0124
	ds_write_b64 v20, v[46:47]                                 // 000000005CB8: D89A0000 00002E14
	ds_write_b64 v20, v[50:51] offset:4352                     // 000000005CC0: D89A1100 00003214
	ds_write_b64 v20, v[54:55] offset:2176                     // 000000005CC8: D89A0880 00003614
	ds_write_b64 v20, v[58:59] offset:6528                     // 000000005CD0: D89A1980 00003A14
	s_waitcnt lgkmcnt(0)                                       // 000000005CD8: BF8CC07F
	s_barrier                                                  // 000000005CDC: BF8A0000
	ds_read_b32 v46, v21                                       // 000000005CE0: D86C0000 2E000015
	ds_read_b32 v47, v21 offset:64                             // 000000005CE8: D86C0040 2F000015
	ds_read_b32 v50, v21 offset:2176                           // 000000005CF0: D86C0880 32000015
	ds_read_b32 v51, v21 offset:2240                           // 000000005CF8: D86C08C0 33000015
	ds_read_b32 v54, v21 offset:4352                           // 000000005D00: D86C1100 36000015
	ds_read_b32 v55, v21 offset:4416                           // 000000005D08: D86C1140 37000015
	ds_read_b32 v58, v21 offset:6528                           // 000000005D10: D86C1980 3A000015
	ds_read_b32 v59, v21 offset:6592                           // 000000005D18: D86C19C0 3B000015
	s_waitcnt lgkmcnt(0)                                       // 000000005D20: BF8CC07F
	v_mov_b32_e32 v7, 0                                        // 000000005D24: 7E0E0280
	s_mov_b64 exec, s[36:37]                                   // 000000005D28: BEFE0124
	v_mov_b32_e32 v6, v36                                      // 000000005D2C: 7E0C0324
	s_mov_b64 s[60:61], 0                                      // 000000005D30: BEBC0180
	v_readlane_b32 s82, v3, 0                                  // 000000005D34: D2890052 00010103
	s_and_b32 s82, s82, 0xffffff                               // 000000005D3C: 8652FF52 00FFFFFF
	s_cmp_lt_u32 s82, s66                                      // 000000005D44: BF0A4252
	s_cselect_b32 s20, s36, s60                                // 000000005D48: 85143C24
	v_readlane_b32 s82, v3, 1                                  // 000000005D4C: D2890052 00010303
	s_and_b32 s82, s82, 0xffffff                               // 000000005D54: 8652FF52 00FFFFFF
	s_cmp_lt_u32 s82, s66                                      // 000000005D5C: BF0A4252
	s_cselect_b32 s21, s36, s60                                // 000000005D60: 85153C24
	s_mov_b64 exec, s[20:21]                                   // 000000005D64: BEFE0114
	global_atomic_add_f32 v6, v46, s[8:9] offset:8             // 000000005D68: DD348008 00082E06
	global_atomic_add_f32 v6, v50, s[8:9] offset:264           // 000000005D70: DD348108 00083206
	s_mov_b64 exec, s[36:37]                                   // 000000005D78: BEFE0124
	v_mov_b32_e32 v6, v37                                      // 000000005D7C: 7E0C0325
	s_mov_b64 s[60:61], 0                                      // 000000005D80: BEBC0180
	v_readlane_b32 s82, v3, 2                                  // 000000005D84: D2890052 00010503
	s_and_b32 s82, s82, 0xffffff                               // 000000005D8C: 8652FF52 00FFFFFF
	s_cmp_lt_u32 s82, s66                                      // 000000005D94: BF0A4252
	s_cselect_b32 s20, s36, s60                                // 000000005D98: 85143C24
	v_readlane_b32 s82, v3, 3                                  // 000000005D9C: D2890052 00010703
	s_and_b32 s82, s82, 0xffffff                               // 000000005DA4: 8652FF52 00FFFFFF
	s_cmp_lt_u32 s82, s66                                      // 000000005DAC: BF0A4252
	s_cselect_b32 s21, s36, s60                                // 000000005DB0: 85153C24
	s_mov_b64 exec, s[20:21]                                   // 000000005DB4: BEFE0114
	global_atomic_add_f32 v6, v47, s[8:9] offset:8             // 000000005DB8: DD348008 00082F06
	global_atomic_add_f32 v6, v51, s[8:9] offset:264           // 000000005DC0: DD348108 00083306
	s_mov_b64 exec, s[36:37]                                   // 000000005DC8: BEFE0124
	v_mov_b32_e32 v6, v38                                      // 000000005DCC: 7E0C0326
	s_mov_b64 s[60:61], 0                                      // 000000005DD0: BEBC0180
	v_readlane_b32 s82, v3, 4                                  // 000000005DD4: D2890052 00010903
	s_and_b32 s82, s82, 0xffffff                               // 000000005DDC: 8652FF52 00FFFFFF
	s_cmp_lt_u32 s82, s66                                      // 000000005DE4: BF0A4252
	s_cselect_b32 s20, s36, s60                                // 000000005DE8: 85143C24
	v_readlane_b32 s82, v3, 5                                  // 000000005DEC: D2890052 00010B03
	s_and_b32 s82, s82, 0xffffff                               // 000000005DF4: 8652FF52 00FFFFFF
	s_cmp_lt_u32 s82, s66                                      // 000000005DFC: BF0A4252
	s_cselect_b32 s21, s36, s60                                // 000000005E00: 85153C24
	s_mov_b64 exec, s[20:21]                                   // 000000005E04: BEFE0114
	global_atomic_add_f32 v6, v54, s[8:9] offset:8             // 000000005E08: DD348008 00083606
	global_atomic_add_f32 v6, v58, s[8:9] offset:264           // 000000005E10: DD348108 00083A06
	s_mov_b64 exec, s[36:37]                                   // 000000005E18: BEFE0124
	v_mov_b32_e32 v6, v39                                      // 000000005E1C: 7E0C0327
	s_mov_b64 s[60:61], 0                                      // 000000005E20: BEBC0180
	v_readlane_b32 s82, v3, 6                                  // 000000005E24: D2890052 00010D03
	s_and_b32 s82, s82, 0xffffff                               // 000000005E2C: 8652FF52 00FFFFFF
	s_cmp_lt_u32 s82, s66                                      // 000000005E34: BF0A4252
	s_cselect_b32 s20, s36, s60                                // 000000005E38: 85143C24
	v_readlane_b32 s82, v3, 7                                  // 000000005E3C: D2890052 00010F03
	s_and_b32 s82, s82, 0xffffff                               // 000000005E44: 8652FF52 00FFFFFF
	s_cmp_lt_u32 s82, s66                                      // 000000005E4C: BF0A4252
	s_cselect_b32 s21, s36, s60                                // 000000005E50: 85153C24
	s_mov_b64 exec, s[20:21]                                   // 000000005E54: BEFE0114
	global_atomic_add_f32 v6, v55, s[8:9] offset:8             // 000000005E58: DD348008 00083706
	global_atomic_add_f32 v6, v59, s[8:9] offset:264           // 000000005E60: DD348108 00083B06
	s_mov_b64 exec, s[36:37]                                   // 000000005E68: BEFE0124
	ds_write_b64 v20, v[60:61]                                 // 000000005E6C: D89A0000 00003C14
	ds_write_b64 v20, v[64:65] offset:4352                     // 000000005E74: D89A1100 00004014
	ds_write_b64 v20, v[68:69] offset:2176                     // 000000005E7C: D89A0880 00004414
	ds_write_b64 v20, v[72:73] offset:6528                     // 000000005E84: D89A1980 00004814
	s_waitcnt lgkmcnt(0)                                       // 000000005E8C: BF8CC07F
	s_barrier                                                  // 000000005E90: BF8A0000
	ds_read_b32 v60, v21                                       // 000000005E94: D86C0000 3C000015
	ds_read_b32 v61, v21 offset:64                             // 000000005E9C: D86C0040 3D000015
	ds_read_b32 v64, v21 offset:2176                           // 000000005EA4: D86C0880 40000015
	ds_read_b32 v65, v21 offset:2240                           // 000000005EAC: D86C08C0 41000015
	ds_read_b32 v68, v21 offset:4352                           // 000000005EB4: D86C1100 44000015
	ds_read_b32 v69, v21 offset:4416                           // 000000005EBC: D86C1140 45000015
	ds_read_b32 v72, v21 offset:6528                           // 000000005EC4: D86C1980 48000015
	ds_read_b32 v73, v21 offset:6592                           // 000000005ECC: D86C19C0 49000015
	s_mul_i32 s60, s65, 4                                      // 000000005ED4: 923C8441
	s_add_u32 s8, s60, s8                                      // 000000005ED8: 8008083C
	s_addc_u32 s9, 0, s9                                       // 000000005EDC: 82090980
	s_waitcnt lgkmcnt(0)                                       // 000000005EE0: BF8CC07F
	v_mov_b32_e32 v7, 0                                        // 000000005EE4: 7E0E0280
	s_mov_b64 exec, s[36:37]                                   // 000000005EE8: BEFE0124
	v_mov_b32_e32 v6, v36                                      // 000000005EEC: 7E0C0324
	s_mov_b64 s[60:61], 0                                      // 000000005EF0: BEBC0180
	v_readlane_b32 s82, v3, 0                                  // 000000005EF4: D2890052 00010103
	s_and_b32 s82, s82, 0xffffff                               // 000000005EFC: 8652FF52 00FFFFFF
	s_cmp_lt_u32 s82, s66                                      // 000000005F04: BF0A4252
	s_cselect_b32 s20, s36, s60                                // 000000005F08: 85143C24
	v_readlane_b32 s82, v3, 1                                  // 000000005F0C: D2890052 00010303
	s_and_b32 s82, s82, 0xffffff                               // 000000005F14: 8652FF52 00FFFFFF
	s_cmp_lt_u32 s82, s66                                      // 000000005F1C: BF0A4252
	s_cselect_b32 s21, s36, s60                                // 000000005F20: 85153C24
	s_mov_b64 exec, s[20:21]                                   // 000000005F24: BEFE0114
	global_atomic_add_f32 v6, v60, s[8:9]                      // 000000005F28: DD348000 00083C06
	global_atomic_add_f32 v6, v64, s[8:9] offset:256           // 000000005F30: DD348100 00084006
	s_mov_b64 exec, s[36:37]                                   // 000000005F38: BEFE0124
	v_mov_b32_e32 v6, v37                                      // 000000005F3C: 7E0C0325
	s_mov_b64 s[60:61], 0                                      // 000000005F40: BEBC0180
	v_readlane_b32 s82, v3, 2                                  // 000000005F44: D2890052 00010503
	s_and_b32 s82, s82, 0xffffff                               // 000000005F4C: 8652FF52 00FFFFFF
	s_cmp_lt_u32 s82, s66                                      // 000000005F54: BF0A4252
	s_cselect_b32 s20, s36, s60                                // 000000005F58: 85143C24
	v_readlane_b32 s82, v3, 3                                  // 000000005F5C: D2890052 00010703
	s_and_b32 s82, s82, 0xffffff                               // 000000005F64: 8652FF52 00FFFFFF
	s_cmp_lt_u32 s82, s66                                      // 000000005F6C: BF0A4252
	s_cselect_b32 s21, s36, s60                                // 000000005F70: 85153C24
	s_mov_b64 exec, s[20:21]                                   // 000000005F74: BEFE0114
	global_atomic_add_f32 v6, v61, s[8:9]                      // 000000005F78: DD348000 00083D06
	global_atomic_add_f32 v6, v65, s[8:9] offset:256           // 000000005F80: DD348100 00084106
	s_mov_b64 exec, s[36:37]                                   // 000000005F88: BEFE0124
	v_mov_b32_e32 v6, v38                                      // 000000005F8C: 7E0C0326
	s_mov_b64 s[60:61], 0                                      // 000000005F90: BEBC0180
	v_readlane_b32 s82, v3, 4                                  // 000000005F94: D2890052 00010903
	s_and_b32 s82, s82, 0xffffff                               // 000000005F9C: 8652FF52 00FFFFFF
	s_cmp_lt_u32 s82, s66                                      // 000000005FA4: BF0A4252
	s_cselect_b32 s20, s36, s60                                // 000000005FA8: 85143C24
	v_readlane_b32 s82, v3, 5                                  // 000000005FAC: D2890052 00010B03
	s_and_b32 s82, s82, 0xffffff                               // 000000005FB4: 8652FF52 00FFFFFF
	s_cmp_lt_u32 s82, s66                                      // 000000005FBC: BF0A4252
	s_cselect_b32 s21, s36, s60                                // 000000005FC0: 85153C24
	s_mov_b64 exec, s[20:21]                                   // 000000005FC4: BEFE0114
	global_atomic_add_f32 v6, v68, s[8:9]                      // 000000005FC8: DD348000 00084406
	global_atomic_add_f32 v6, v72, s[8:9] offset:256           // 000000005FD0: DD348100 00084806
	s_mov_b64 exec, s[36:37]                                   // 000000005FD8: BEFE0124
	v_mov_b32_e32 v6, v39                                      // 000000005FDC: 7E0C0327
	s_mov_b64 s[60:61], 0                                      // 000000005FE0: BEBC0180
	v_readlane_b32 s82, v3, 6                                  // 000000005FE4: D2890052 00010D03
	s_and_b32 s82, s82, 0xffffff                               // 000000005FEC: 8652FF52 00FFFFFF
	s_cmp_lt_u32 s82, s66                                      // 000000005FF4: BF0A4252
	s_cselect_b32 s20, s36, s60                                // 000000005FF8: 85143C24
	v_readlane_b32 s82, v3, 7                                  // 000000005FFC: D2890052 00010F03
	s_and_b32 s82, s82, 0xffffff                               // 000000006004: 8652FF52 00FFFFFF
	s_cmp_lt_u32 s82, s66                                      // 00000000600C: BF0A4252
	s_cselect_b32 s21, s36, s60                                // 000000006010: 85153C24
	s_mov_b64 exec, s[20:21]                                   // 000000006014: BEFE0114
	global_atomic_add_f32 v6, v69, s[8:9]                      // 000000006018: DD348000 00084506
	global_atomic_add_f32 v6, v73, s[8:9] offset:256           // 000000006020: DD348100 00084906
	s_mov_b64 exec, s[36:37]                                   // 000000006028: BEFE0124
	ds_write_b64 v20, v[62:63]                                 // 00000000602C: D89A0000 00003E14
	ds_write_b64 v20, v[66:67] offset:4352                     // 000000006034: D89A1100 00004214
	ds_write_b64 v20, v[70:71] offset:2176                     // 00000000603C: D89A0880 00004614
	ds_write_b64 v20, v[74:75] offset:6528                     // 000000006044: D89A1980 00004A14
	s_waitcnt lgkmcnt(0)                                       // 00000000604C: BF8CC07F
	s_barrier                                                  // 000000006050: BF8A0000
	ds_read_b32 v62, v21                                       // 000000006054: D86C0000 3E000015
	ds_read_b32 v63, v21 offset:64                             // 00000000605C: D86C0040 3F000015
	ds_read_b32 v66, v21 offset:2176                           // 000000006064: D86C0880 42000015
	ds_read_b32 v67, v21 offset:2240                           // 00000000606C: D86C08C0 43000015
	ds_read_b32 v70, v21 offset:4352                           // 000000006074: D86C1100 46000015
	ds_read_b32 v71, v21 offset:4416                           // 00000000607C: D86C1140 47000015
	ds_read_b32 v74, v21 offset:6528                           // 000000006084: D86C1980 4A000015
	ds_read_b32 v75, v21 offset:6592                           // 00000000608C: D86C19C0 4B000015
	s_waitcnt lgkmcnt(0)                                       // 000000006094: BF8CC07F
	v_mov_b32_e32 v7, 0                                        // 000000006098: 7E0E0280
	s_mov_b64 exec, s[36:37]                                   // 00000000609C: BEFE0124
	v_mov_b32_e32 v6, v36                                      // 0000000060A0: 7E0C0324
	s_mov_b64 s[60:61], 0                                      // 0000000060A4: BEBC0180
	v_readlane_b32 s82, v3, 0                                  // 0000000060A8: D2890052 00010103
	s_and_b32 s82, s82, 0xffffff                               // 0000000060B0: 8652FF52 00FFFFFF
	s_cmp_lt_u32 s82, s66                                      // 0000000060B8: BF0A4252
	s_cselect_b32 s20, s36, s60                                // 0000000060BC: 85143C24
	v_readlane_b32 s82, v3, 1                                  // 0000000060C0: D2890052 00010303
	s_and_b32 s82, s82, 0xffffff                               // 0000000060C8: 8652FF52 00FFFFFF
	s_cmp_lt_u32 s82, s66                                      // 0000000060D0: BF0A4252
	s_cselect_b32 s21, s36, s60                                // 0000000060D4: 85153C24
	s_mov_b64 exec, s[20:21]                                   // 0000000060D8: BEFE0114
	global_atomic_add_f32 v6, v62, s[8:9] offset:8             // 0000000060DC: DD348008 00083E06
	global_atomic_add_f32 v6, v66, s[8:9] offset:264           // 0000000060E4: DD348108 00084206
	s_mov_b64 exec, s[36:37]                                   // 0000000060EC: BEFE0124
	v_mov_b32_e32 v6, v37                                      // 0000000060F0: 7E0C0325
	s_mov_b64 s[60:61], 0                                      // 0000000060F4: BEBC0180
	v_readlane_b32 s82, v3, 2                                  // 0000000060F8: D2890052 00010503
	s_and_b32 s82, s82, 0xffffff                               // 000000006100: 8652FF52 00FFFFFF
	s_cmp_lt_u32 s82, s66                                      // 000000006108: BF0A4252
	s_cselect_b32 s20, s36, s60                                // 00000000610C: 85143C24
	v_readlane_b32 s82, v3, 3                                  // 000000006110: D2890052 00010703
	s_and_b32 s82, s82, 0xffffff                               // 000000006118: 8652FF52 00FFFFFF
	s_cmp_lt_u32 s82, s66                                      // 000000006120: BF0A4252
	s_cselect_b32 s21, s36, s60                                // 000000006124: 85153C24
	s_mov_b64 exec, s[20:21]                                   // 000000006128: BEFE0114
	global_atomic_add_f32 v6, v63, s[8:9] offset:8             // 00000000612C: DD348008 00083F06
	global_atomic_add_f32 v6, v67, s[8:9] offset:264           // 000000006134: DD348108 00084306
	s_mov_b64 exec, s[36:37]                                   // 00000000613C: BEFE0124
	v_mov_b32_e32 v6, v38                                      // 000000006140: 7E0C0326
	s_mov_b64 s[60:61], 0                                      // 000000006144: BEBC0180
	v_readlane_b32 s82, v3, 4                                  // 000000006148: D2890052 00010903
	s_and_b32 s82, s82, 0xffffff                               // 000000006150: 8652FF52 00FFFFFF
	s_cmp_lt_u32 s82, s66                                      // 000000006158: BF0A4252
	s_cselect_b32 s20, s36, s60                                // 00000000615C: 85143C24
	v_readlane_b32 s82, v3, 5                                  // 000000006160: D2890052 00010B03
	s_and_b32 s82, s82, 0xffffff                               // 000000006168: 8652FF52 00FFFFFF
	s_cmp_lt_u32 s82, s66                                      // 000000006170: BF0A4252
	s_cselect_b32 s21, s36, s60                                // 000000006174: 85153C24
	s_mov_b64 exec, s[20:21]                                   // 000000006178: BEFE0114
	global_atomic_add_f32 v6, v70, s[8:9] offset:8             // 00000000617C: DD348008 00084606
	global_atomic_add_f32 v6, v74, s[8:9] offset:264           // 000000006184: DD348108 00084A06
	s_mov_b64 exec, s[36:37]                                   // 00000000618C: BEFE0124
	v_mov_b32_e32 v6, v39                                      // 000000006190: 7E0C0327
	s_mov_b64 s[60:61], 0                                      // 000000006194: BEBC0180
	v_readlane_b32 s82, v3, 6                                  // 000000006198: D2890052 00010D03
	s_and_b32 s82, s82, 0xffffff                               // 0000000061A0: 8652FF52 00FFFFFF
	s_cmp_lt_u32 s82, s66                                      // 0000000061A8: BF0A4252
	s_cselect_b32 s20, s36, s60                                // 0000000061AC: 85143C24
	v_readlane_b32 s82, v3, 7                                  // 0000000061B0: D2890052 00010F03
	s_and_b32 s82, s82, 0xffffff                               // 0000000061B8: 8652FF52 00FFFFFF
	s_cmp_lt_u32 s82, s66                                      // 0000000061C0: BF0A4252
	s_cselect_b32 s21, s36, s60                                // 0000000061C4: 85153C24
	s_mov_b64 exec, s[20:21]                                   // 0000000061C8: BEFE0114
	global_atomic_add_f32 v6, v71, s[8:9] offset:8             // 0000000061CC: DD348008 00084706
	global_atomic_add_f32 v6, v75, s[8:9] offset:264           // 0000000061D4: DD348108 00084B06
	s_mov_b64 exec, s[36:37]                                   // 0000000061DC: BEFE0124
	s_branch label_0DFC                                        // 0000000061E0: BF820000

00000000000061e4 <label_0DFC>:
	s_waitcnt vmcnt(0) expcnt(0) lgkmcnt(0)                    // 0000000061E4: BF8C0000
	s_endpgm                                                   // 0000000061E8: BF810000
